;; amdgpu-corpus repo=ROCm/rocFFT kind=compiled arch=gfx906 opt=O3
	.text
	.amdgcn_target "amdgcn-amd-amdhsa--gfx906"
	.amdhsa_code_object_version 6
	.protected	bluestein_single_back_len156_dim1_sp_op_CI_CI ; -- Begin function bluestein_single_back_len156_dim1_sp_op_CI_CI
	.globl	bluestein_single_back_len156_dim1_sp_op_CI_CI
	.p2align	8
	.type	bluestein_single_back_len156_dim1_sp_op_CI_CI,@function
bluestein_single_back_len156_dim1_sp_op_CI_CI: ; @bluestein_single_back_len156_dim1_sp_op_CI_CI
; %bb.0:
	v_mul_u32_u24_e32 v1, 0x13b2, v0
	s_load_dwordx4 s[16:19], s[4:5], 0x28
	v_lshrrev_b32_e32 v1, 16, v1
	v_mad_u64_u32 v[72:73], s[0:1], s6, 9, v[1:2]
	v_mov_b32_e32 v73, 0
                                        ; kill: def $vgpr2 killed $sgpr0 killed $exec
	s_waitcnt lgkmcnt(0)
	v_cmp_gt_u64_e32 vcc, s[16:17], v[72:73]
	s_and_saveexec_b64 s[0:1], vcc
	s_cbranch_execz .LBB0_10
; %bb.1:
	s_load_dwordx4 s[0:3], s[4:5], 0x18
	s_load_dwordx4 s[12:15], s[4:5], 0x0
	v_mul_lo_u16_e32 v1, 13, v1
	v_sub_u16_e32 v95, v0, v1
	v_lshlrev_b32_e32 v12, 3, v95
	s_waitcnt lgkmcnt(0)
	s_load_dwordx4 s[8:11], s[0:1], 0x0
	global_load_dwordx2 v[81:82], v12, s[12:13] offset:416
	global_load_dwordx2 v[77:78], v12, s[12:13] offset:832
	v_add_u32_e32 v31, 39, v95
                                        ; implicit-def: $vgpr93
	s_waitcnt lgkmcnt(0)
	v_mad_u64_u32 v[0:1], s[0:1], s10, v72, 0
	v_mad_u64_u32 v[2:3], s[0:1], s8, v95, 0
	s_mul_hi_u32 s7, s8, 0xfffffd28
	s_mul_i32 s6, s9, 0xfffffd28
	v_mad_u64_u32 v[4:5], s[0:1], s11, v72, v[1:2]
	s_sub_i32 s7, s7, s8
	s_add_i32 s6, s7, s6
	v_mad_u64_u32 v[5:6], s[0:1], s9, v95, v[3:4]
	v_mov_b32_e32 v1, v4
	v_lshlrev_b64 v[0:1], 3, v[0:1]
	v_mov_b32_e32 v6, s19
	v_mov_b32_e32 v3, v5
	v_add_co_u32_e32 v4, vcc, s18, v0
	v_addc_co_u32_e32 v5, vcc, v6, v1, vcc
	v_lshlrev_b64 v[0:1], 3, v[2:3]
	s_mul_i32 s0, s9, 0x1a0
	v_add_co_u32_e32 v0, vcc, v4, v0
	s_mul_hi_u32 s1, s8, 0x1a0
	v_addc_co_u32_e32 v1, vcc, v5, v1, vcc
	s_add_i32 s0, s1, s0
	s_mul_i32 s1, s8, 0x1a0
	global_load_dwordx2 v[2:3], v[0:1], off
	v_mov_b32_e32 v4, s0
	v_add_co_u32_e32 v0, vcc, s1, v0
	v_addc_co_u32_e32 v1, vcc, v1, v4, vcc
	v_mov_b32_e32 v5, s0
	v_add_co_u32_e32 v4, vcc, s1, v0
	v_addc_co_u32_e32 v5, vcc, v1, v5, vcc
	s_mul_i32 s7, s8, 0xfffffd28
	v_mov_b32_e32 v7, s6
	v_add_co_u32_e32 v6, vcc, s7, v4
	v_addc_co_u32_e32 v7, vcc, v5, v7, vcc
	global_load_dwordx2 v[83:84], v12, s[12:13]
	global_load_dwordx2 v[79:80], v12, s[12:13] offset:104
	v_mov_b32_e32 v9, s0
	v_add_co_u32_e32 v8, vcc, s1, v6
	v_addc_co_u32_e32 v9, vcc, v7, v9, vcc
	global_load_dwordx2 v[10:11], v[0:1], off
	global_load_dwordx2 v[13:14], v[4:5], off
	global_load_dwordx2 v[15:16], v[6:7], off
	global_load_dwordx2 v[17:18], v[8:9], off
	global_load_dwordx2 v[75:76], v12, s[12:13] offset:520
	v_mov_b32_e32 v1, s0
	v_add_co_u32_e32 v0, vcc, s1, v8
	v_addc_co_u32_e32 v1, vcc, v9, v1, vcc
	global_load_dwordx2 v[4:5], v[0:1], off
	global_load_dwordx2 v[73:74], v12, s[12:13] offset:936
	v_mov_b32_e32 v6, s6
	v_add_co_u32_e32 v0, vcc, s7, v0
	v_addc_co_u32_e32 v1, vcc, v1, v6, vcc
	global_load_dwordx2 v[6:7], v[0:1], off
	;; [unrolled: 5-line block ×7, first 2 shown]
	global_load_dwordx2 v[60:61], v12, s[12:13] offset:1144
	s_mov_b32 s0, 0x38e38e39
	v_mul_hi_u32 v0, v72, s0
	s_load_dwordx4 s[8:11], s[2:3], 0x0
	v_add_co_u32_e32 v29, vcc, 13, v95
	v_lshrrev_b32_e32 v0, 1, v0
	v_lshl_add_u32 v0, v0, 3, v0
	v_sub_u32_e32 v0, v72, v0
	v_mul_u32_u24_e32 v1, 0x9c, v0
	v_lshlrev_b32_e32 v97, 3, v1
	v_add_u32_e32 v96, v12, v97
	v_add_co_u32_e32 v30, vcc, 26, v95
	s_movk_i32 s0, 0xab
	s_load_dwordx2 s[2:3], s[4:5], 0x38
	s_waitcnt vmcnt(20)
	v_mul_f32_e32 v0, v3, v84
	v_mul_f32_e32 v1, v2, v84
	v_fmac_f32_e32 v0, v2, v83
	v_fma_f32 v1, v3, v83, -v1
	s_waitcnt vmcnt(18)
	v_mul_f32_e32 v2, v11, v82
	v_mul_f32_e32 v3, v10, v82
	v_fmac_f32_e32 v2, v10, v81
	v_fma_f32 v3, v11, v81, -v3
	ds_write_b64 v96, v[2:3] offset:416
	s_waitcnt vmcnt(17)
	v_mul_f32_e32 v2, v14, v78
	v_mul_f32_e32 v3, v13, v78
	v_fmac_f32_e32 v2, v13, v77
	v_fma_f32 v3, v14, v77, -v3
	ds_write_b64 v96, v[2:3] offset:832
	s_waitcnt vmcnt(16)
	v_mul_f32_e32 v2, v16, v80
	v_mul_f32_e32 v3, v15, v80
	v_fmac_f32_e32 v2, v15, v79
	v_fma_f32 v3, v16, v79, -v3
	ds_write2_b64 v96, v[0:1], v[2:3] offset1:13
	s_waitcnt vmcnt(12)
	v_mul_f32_e32 v2, v5, v74
	v_mul_f32_e32 v3, v4, v74
	v_fmac_f32_e32 v2, v4, v73
	v_fma_f32 v3, v5, v73, -v3
	s_waitcnt vmcnt(10)
	v_mul_f32_e32 v4, v7, v71
	v_mul_f32_e32 v5, v6, v71
	;; [unrolled: 1-line block ×4, first 2 shown]
	v_fmac_f32_e32 v4, v6, v70
	v_fma_f32 v5, v7, v70, -v5
	s_waitcnt vmcnt(8)
	v_mul_f32_e32 v6, v9, v69
	v_mul_f32_e32 v7, v8, v69
	v_fmac_f32_e32 v0, v17, v75
	v_fma_f32 v1, v18, v75, -v1
	v_fmac_f32_e32 v6, v8, v68
	v_fma_f32 v7, v9, v68, -v7
	ds_write2_b64 v96, v[0:1], v[6:7] offset0:65 offset1:78
	s_waitcnt vmcnt(6)
	v_mul_f32_e32 v0, v20, v67
	v_mul_f32_e32 v1, v19, v67
	v_fmac_f32_e32 v0, v19, v66
	v_fma_f32 v1, v20, v66, -v1
	ds_write2_b64 v96, v[2:3], v[0:1] offset0:117 offset1:130
	s_waitcnt vmcnt(4)
	v_mul_f32_e32 v0, v22, v65
	v_mul_f32_e32 v1, v21, v65
	;; [unrolled: 6-line block ×3, first 2 shown]
	v_fmac_f32_e32 v0, v23, v62
	v_fma_f32 v1, v24, v62, -v1
	ds_write_b64 v96, v[0:1] offset:728
	s_waitcnt vmcnt(0)
	v_mul_f32_e32 v0, v26, v61
	v_mul_f32_e32 v1, v25, v61
	v_fmac_f32_e32 v0, v25, v60
	v_fma_f32 v1, v26, v60, -v1
	ds_write_b64 v96, v[0:1] offset:1144
	s_waitcnt lgkmcnt(0)
	s_barrier
	ds_read2_b64 v[0:3], v96 offset1:13
	ds_read2_b64 v[4:7], v96 offset0:52 offset1:65
	ds_read2_b64 v[8:11], v96 offset0:104 offset1:117
	;; [unrolled: 1-line block ×5, first 2 shown]
	s_waitcnt lgkmcnt(4)
	v_add_f32_e32 v25, v0, v4
	s_waitcnt lgkmcnt(3)
	v_add_f32_e32 v26, v4, v8
	v_fma_f32 v0, -0.5, v26, v0
	v_sub_f32_e32 v26, v5, v9
	v_mov_b32_e32 v27, v0
	v_fmac_f32_e32 v27, 0x3f5db3d7, v26
	v_fmac_f32_e32 v0, 0xbf5db3d7, v26
	v_add_f32_e32 v26, v1, v5
	v_add_f32_e32 v5, v5, v9
	v_fma_f32 v1, -0.5, v5, v1
	v_sub_f32_e32 v4, v4, v8
	v_mov_b32_e32 v28, v1
	v_add_f32_e32 v5, v6, v10
	v_fmac_f32_e32 v28, 0xbf5db3d7, v4
	v_fmac_f32_e32 v1, 0x3f5db3d7, v4
	v_add_f32_e32 v4, v2, v6
	v_fma_f32 v2, -0.5, v5, v2
	v_add_f32_e32 v25, v25, v8
	v_sub_f32_e32 v5, v7, v11
	v_mov_b32_e32 v8, v2
	v_fmac_f32_e32 v8, 0x3f5db3d7, v5
	v_fmac_f32_e32 v2, 0xbf5db3d7, v5
	v_add_f32_e32 v5, v3, v7
	v_add_f32_e32 v7, v7, v11
	v_fmac_f32_e32 v3, -0.5, v7
	s_waitcnt lgkmcnt(0)
	v_add_f32_e32 v7, v17, v21
	v_add_f32_e32 v26, v26, v9
	;; [unrolled: 1-line block ×4, first 2 shown]
	v_sub_f32_e32 v6, v6, v10
	v_mov_b32_e32 v9, v3
	v_fma_f32 v10, -0.5, v7, v13
	v_add_f32_e32 v11, v18, v22
	v_fmac_f32_e32 v9, 0xbf5db3d7, v6
	v_fmac_f32_e32 v3, 0x3f5db3d7, v6
	v_add_f32_e32 v6, v13, v17
	v_sub_f32_e32 v7, v18, v22
	v_mov_b32_e32 v13, v10
	v_fma_f32 v11, -0.5, v11, v14
	v_fmac_f32_e32 v13, 0x3f5db3d7, v7
	v_fmac_f32_e32 v10, 0xbf5db3d7, v7
	v_add_f32_e32 v7, v14, v18
	v_sub_f32_e32 v17, v17, v21
	v_mov_b32_e32 v14, v11
	v_add_f32_e32 v18, v19, v23
	v_fmac_f32_e32 v14, 0xbf5db3d7, v17
	v_fmac_f32_e32 v11, 0x3f5db3d7, v17
	v_add_f32_e32 v17, v15, v19
	v_fma_f32 v15, -0.5, v18, v15
	v_add_f32_e32 v6, v6, v21
	v_sub_f32_e32 v18, v20, v24
	v_mov_b32_e32 v21, v15
	v_fmac_f32_e32 v21, 0x3f5db3d7, v18
	v_fmac_f32_e32 v15, 0xbf5db3d7, v18
	v_add_f32_e32 v18, v16, v20
	v_add_f32_e32 v20, v20, v24
	v_fmac_f32_e32 v16, -0.5, v20
	v_add_f32_e32 v7, v7, v22
	v_sub_f32_e32 v19, v19, v23
	v_mov_b32_e32 v22, v16
	v_fmac_f32_e32 v22, 0xbf5db3d7, v19
	v_fmac_f32_e32 v16, 0x3f5db3d7, v19
	v_mul_lo_u16_e32 v19, 3, v95
	v_lshl_add_u32 v98, v19, 3, v97
	s_barrier
	ds_write2_b64 v98, v[25:26], v[27:28] offset1:1
	ds_write_b64 v98, v[0:1] offset:16
	v_mul_u32_u24_e32 v0, 3, v29
	v_lshl_add_u32 v99, v0, 3, v97
	v_mul_u32_u24_e32 v0, 3, v30
	v_lshl_add_u32 v100, v0, 3, v97
	;; [unrolled: 2-line block ×3, first 2 shown]
	v_mul_lo_u16_sdwa v0, v95, s0 dst_sel:DWORD dst_unused:UNUSED_PAD src0_sel:BYTE_0 src1_sel:DWORD
	v_lshrrev_b16_e32 v31, 9, v0
	v_mul_lo_u16_e32 v0, 3, v31
	v_sub_u16_e32 v32, v95, v0
	v_mul_lo_u16_e32 v0, 24, v32
	v_and_b32_e32 v0, 0xf8, v0
	ds_write2_b64 v99, v[4:5], v[8:9] offset1:1
	ds_write_b64 v99, v[2:3] offset:16
	ds_write2_b64 v100, v[6:7], v[13:14] offset1:1
	ds_write_b64 v100, v[10:11] offset:16
	v_mov_b32_e32 v6, s15
	v_add_co_u32_e32 v4, vcc, s14, v0
	v_add_f32_e32 v17, v17, v23
	v_add_f32_e32 v18, v18, v24
	v_addc_co_u32_e32 v5, vcc, 0, v6, vcc
	ds_write2_b64 v101, v[17:18], v[21:22] offset1:1
	ds_write_b64 v101, v[15:16] offset:16
	s_waitcnt lgkmcnt(0)
	s_barrier
	global_load_dwordx2 v[85:86], v[4:5], off offset:16
	global_load_dwordx4 v[0:3], v[4:5], off
	v_mul_lo_u16_sdwa v4, v29, s0 dst_sel:DWORD dst_unused:UNUSED_PAD src0_sel:BYTE_0 src1_sel:DWORD
	v_lshrrev_b16_e32 v33, 9, v4
	v_mul_lo_u16_e32 v4, 3, v33
	v_sub_u16_e32 v29, v29, v4
	v_mul_lo_u16_e32 v4, 24, v29
	v_and_b32_e32 v4, 0xf8, v4
	v_add_co_u32_e32 v13, vcc, s14, v4
	v_mul_lo_u16_sdwa v4, v30, s0 dst_sel:DWORD dst_unused:UNUSED_PAD src0_sel:BYTE_0 src1_sel:DWORD
	v_lshrrev_b16_e32 v34, 9, v4
	v_mul_lo_u16_e32 v4, 3, v34
	v_sub_u16_e32 v4, v30, v4
	v_addc_co_u32_e32 v14, vcc, 0, v6, vcc
	v_and_b32_e32 v30, 0xff, v4
	global_load_dwordx4 v[8:11], v[13:14], off
	v_mad_u64_u32 v[15:16], s[0:1], v30, 24, s[14:15]
	global_load_dwordx4 v[4:7], v[15:16], off
	global_load_dwordx2 v[89:90], v[13:14], off offset:16
	global_load_dwordx2 v[87:88], v[15:16], off offset:16
	ds_read2_b64 v[13:16], v96 offset0:78 offset1:91
	ds_read2_b64 v[17:20], v96 offset0:104 offset1:117
	;; [unrolled: 1-line block ×4, first 2 shown]
	v_add_co_u32_e32 v91, vcc, s12, v12
	s_waitcnt vmcnt(5) lgkmcnt(2)
	v_mul_f32_e32 v38, v19, v86
	s_waitcnt vmcnt(4)
	v_mul_f32_e32 v35, v14, v3
	v_fma_f32 v35, v13, v2, -v35
	v_mul_f32_e32 v36, v13, v3
	v_mul_f32_e32 v13, v20, v86
	v_fma_f32 v37, v19, v85, -v13
	v_fmac_f32_e32 v36, v14, v2
	v_fmac_f32_e32 v38, v20, v85
	s_waitcnt vmcnt(3)
	v_mul_f32_e32 v13, v16, v11
	v_fma_f32 v39, v15, v10, -v13
	s_waitcnt lgkmcnt(1)
	v_mul_f32_e32 v13, v22, v9
	v_fma_f32 v44, v21, v8, -v13
	v_mul_f32_e32 v21, v21, v9
	s_waitcnt vmcnt(2)
	v_mul_f32_e32 v13, v24, v5
	v_fmac_f32_e32 v21, v22, v8
	v_fma_f32 v22, v23, v4, -v13
	v_mul_f32_e32 v23, v23, v5
	s_waitcnt vmcnt(1) lgkmcnt(0)
	v_mul_f32_e32 v13, v26, v90
	v_fmac_f32_e32 v23, v24, v4
	v_fma_f32 v24, v25, v89, -v13
	v_mul_f32_e32 v25, v25, v90
	v_mul_f32_e32 v13, v18, v7
	;; [unrolled: 1-line block ×3, first 2 shown]
	v_fmac_f32_e32 v25, v26, v89
	v_fma_f32 v26, v17, v6, -v13
	v_mul_f32_e32 v41, v17, v7
	s_waitcnt vmcnt(0)
	v_mul_f32_e32 v17, v28, v88
	v_fmac_f32_e32 v40, v16, v10
	v_fmac_f32_e32 v41, v18, v6
	ds_read2_b64 v[13:16], v96 offset1:13
	v_fma_f32 v52, v27, v87, -v17
	ds_read2_b64 v[17:20], v96 offset0:26 offset1:39
	v_mul_f32_e32 v27, v27, v88
	v_fmac_f32_e32 v27, v28, v87
	s_waitcnt lgkmcnt(1)
	v_sub_f32_e32 v28, v13, v35
	v_sub_f32_e32 v35, v14, v36
	s_waitcnt lgkmcnt(0)
	v_mul_f32_e32 v36, v20, v1
	v_fma_f32 v36, v19, v0, -v36
	v_mul_f32_e32 v19, v19, v1
	v_fmac_f32_e32 v19, v20, v0
	v_sub_f32_e32 v12, v36, v37
	v_sub_f32_e32 v38, v19, v38
	v_fma_f32 v13, v13, 2.0, -v28
	v_fma_f32 v14, v14, 2.0, -v35
	;; [unrolled: 1-line block ×4, first 2 shown]
	v_sub_f32_e32 v46, v15, v39
	v_sub_f32_e32 v47, v16, v40
	v_sub_f32_e32 v20, v17, v26
	v_sub_f32_e32 v26, v18, v41
	v_sub_f32_e32 v40, v13, v36
	v_sub_f32_e32 v41, v14, v19
	v_add_f32_e32 v43, v35, v12
	v_sub_f32_e32 v12, v44, v24
	v_fma_f32 v15, v15, 2.0, -v46
	v_fma_f32 v36, v13, 2.0, -v40
	;; [unrolled: 1-line block ×3, first 2 shown]
	v_sub_f32_e32 v13, v21, v25
	v_fma_f32 v14, v44, 2.0, -v12
	v_add_f32_e32 v51, v47, v12
	v_sub_f32_e32 v12, v22, v52
	v_fma_f32 v19, v21, 2.0, -v13
	v_sub_f32_e32 v48, v15, v14
	v_sub_f32_e32 v50, v46, v13
	;; [unrolled: 1-line block ×3, first 2 shown]
	v_fma_f32 v14, v22, 2.0, -v12
	v_add_f32_e32 v59, v26, v12
	v_mul_lo_u16_e32 v12, 12, v31
	v_fma_f32 v17, v17, 2.0, -v20
	v_fma_f32 v44, v15, 2.0, -v48
	;; [unrolled: 1-line block ×3, first 2 shown]
	v_sub_f32_e32 v58, v20, v13
	v_or_b32_e32 v12, v12, v32
	v_mul_lo_u16_e32 v13, 12, v33
	v_fma_f32 v16, v16, 2.0, -v47
	v_fma_f32 v18, v18, 2.0, -v26
	v_mov_b32_e32 v39, s13
	v_sub_f32_e32 v56, v17, v14
	v_or_b32_e32 v13, v13, v29
	v_mul_u32_u24_e32 v14, 12, v34
	v_and_b32_e32 v12, 0xff, v12
	v_addc_co_u32_e32 v92, vcc, 0, v39, vcc
	v_sub_f32_e32 v42, v28, v38
	v_sub_f32_e32 v49, v16, v19
	;; [unrolled: 1-line block ×3, first 2 shown]
	v_or_b32_e32 v14, v14, v30
	v_lshl_add_u32 v104, v12, 3, v97
	v_and_b32_e32 v12, 0xff, v13
	v_fma_f32 v38, v28, 2.0, -v42
	v_fma_f32 v39, v35, 2.0, -v43
	;; [unrolled: 1-line block ×9, first 2 shown]
	v_lshl_add_u32 v103, v12, 3, v97
	v_lshl_add_u32 v102, v14, 3, v97
	v_cmp_gt_u16_e32 vcc, 12, v95
	s_barrier
	ds_write2_b64 v104, v[36:37], v[38:39] offset1:3
	ds_write2_b64 v104, v[40:41], v[42:43] offset0:6 offset1:9
	ds_write2_b64 v103, v[44:45], v[46:47] offset1:3
	ds_write2_b64 v103, v[48:49], v[50:51] offset0:6 offset1:9
	;; [unrolled: 2-line block ×3, first 2 shown]
	s_waitcnt lgkmcnt(0)
	s_barrier
	s_and_saveexec_b64 s[0:1], vcc
	s_cbranch_execz .LBB0_3
; %bb.2:
	ds_read2_b64 v[36:39], v96 offset1:12
	ds_read2_b64 v[40:43], v96 offset0:24 offset1:36
	ds_read2_b64 v[44:47], v96 offset0:48 offset1:60
	;; [unrolled: 1-line block ×5, first 2 shown]
	ds_read_b64 v[93:94], v96 offset:1152
.LBB0_3:
	s_or_b64 exec, exec, s[0:1]
	v_add_u32_e32 v12, -12, v95
	v_cndmask_b32_e32 v12, v12, v95, vcc
	v_mul_hi_i32_i24_e32 v13, 0x60, v12
	v_mul_i32_i24_e32 v12, 0x60, v12
	v_mov_b32_e32 v14, s15
	v_add_co_u32_e64 v105, s[0:1], s14, v12
	v_addc_co_u32_e64 v106, s[0:1], v14, v13, s[0:1]
	global_load_dwordx4 v[24:27], v[105:106], off offset:72
	global_load_dwordx4 v[20:23], v[105:106], off offset:88
	;; [unrolled: 1-line block ×6, first 2 shown]
	s_mov_b32 s4, 0x3f62ad3f
	s_mov_b32 s5, 0x3f116cb1
	;; [unrolled: 1-line block ×6, first 2 shown]
	s_waitcnt vmcnt(5) lgkmcnt(6)
	v_mul_f32_e32 v105, v38, v25
	s_waitcnt lgkmcnt(5)
	v_mul_f32_e32 v106, v40, v27
	v_fmac_f32_e32 v105, v39, v24
	s_waitcnt vmcnt(2) lgkmcnt(3)
	v_mul_f32_e32 v111, v50, v17
	s_waitcnt lgkmcnt(2)
	v_mul_f32_e32 v124, v53, v19
	s_waitcnt vmcnt(0) lgkmcnt(0)
	v_mul_f32_e32 v117, v93, v35
	v_mul_f32_e32 v115, v58, v33
	v_fmac_f32_e32 v117, v94, v34
	v_mul_f32_e32 v116, v39, v25
	v_mul_f32_e32 v123, v51, v17
	;; [unrolled: 1-line block ×5, first 2 shown]
	v_fmac_f32_e32 v106, v41, v26
	v_fmac_f32_e32 v111, v51, v16
	v_fma_f32 v51, v52, v18, -v124
	v_fmac_f32_e32 v115, v59, v32
	v_sub_f32_e32 v124, v105, v117
	v_mul_f32_e32 v118, v41, v27
	v_mul_f32_e32 v107, v42, v21
	;; [unrolled: 1-line block ×7, first 2 shown]
	v_fma_f32 v116, v38, v24, -v116
	v_fma_f32 v52, v54, v28, -v125
	v_fmac_f32_e32 v113, v55, v28
	v_fma_f32 v55, v93, v34, -v128
	v_sub_f32_e32 v125, v106, v115
	v_mul_f32_e32 v94, 0xbeedf032, v124
	v_mul_f32_e32 v110, v48, v15
	;; [unrolled: 1-line block ×3, first 2 shown]
	v_fma_f32 v118, v40, v26, -v118
	v_fmac_f32_e32 v107, v43, v20
	v_fma_f32 v44, v44, v22, -v120
	v_fmac_f32_e32 v108, v45, v22
	v_fmac_f32_e32 v114, v57, v30
	v_fma_f32 v54, v58, v32, -v127
	v_add_f32_e32 v38, v116, v55
	v_mul_f32_e32 v120, 0xbf52af12, v125
	v_mov_b32_e32 v45, v94
	v_mul_f32_e32 v119, v43, v21
	v_mul_f32_e32 v121, v47, v13
	;; [unrolled: 1-line block ×4, first 2 shown]
	v_fmac_f32_e32 v110, v49, v14
	v_fmac_f32_e32 v112, v53, v18
	v_fma_f32 v53, v56, v30, -v126
	v_sub_f32_e32 v131, v116, v55
	v_add_f32_e32 v39, v118, v54
	v_sub_f32_e32 v126, v107, v114
	v_mov_b32_e32 v49, v120
	v_fmac_f32_e32 v45, 0x3f62ad3f, v38
	v_fma_f32 v119, v42, v20, -v119
	v_fma_f32 v46, v46, v12, -v121
	v_fmac_f32_e32 v109, v47, v12
	v_fma_f32 v47, v48, v14, -v122
	v_add_f32_e32 v41, v105, v117
	v_sub_f32_e32 v132, v118, v54
	v_mul_f32_e32 v122, 0xbeedf032, v131
	v_mul_f32_e32 v121, 0xbf7e222b, v126
	v_fmac_f32_e32 v49, 0x3f116cb1, v39
	v_add_f32_e32 v45, v36, v45
	v_fma_f32 v50, v50, v16, -v123
	v_add_f32_e32 v42, v106, v115
	v_add_f32_e32 v40, v119, v53
	v_sub_f32_e32 v133, v119, v53
	v_mul_f32_e32 v123, 0xbf52af12, v132
	v_fma_f32 v48, v41, s4, -v122
	v_add_f32_e32 v45, v49, v45
	v_mov_b32_e32 v49, v121
	v_add_f32_e32 v43, v107, v114
	v_fma_f32 v56, v42, s5, -v123
	v_add_f32_e32 v48, v37, v48
	v_mul_f32_e32 v128, 0xbf7e222b, v133
	v_fmac_f32_e32 v49, 0x3df6dbef, v40
	v_sub_f32_e32 v134, v108, v113
	v_add_f32_e32 v48, v56, v48
	v_add_f32_e32 v49, v49, v45
	v_fma_f32 v45, v43, s6, -v128
	v_mul_f32_e32 v127, 0xbf6f5d39, v134
	v_add_f32_e32 v48, v45, v48
	v_add_f32_e32 v45, v44, v52
	v_sub_f32_e32 v138, v44, v52
	v_mov_b32_e32 v56, v127
	v_add_f32_e32 v57, v108, v113
	v_mul_f32_e32 v130, 0xbf6f5d39, v138
	v_fmac_f32_e32 v56, 0xbeb58ec6, v45
	v_sub_f32_e32 v137, v109, v112
	v_add_f32_e32 v49, v56, v49
	v_fma_f32 v56, v57, s7, -v130
	v_mul_f32_e32 v129, 0xbf29c268, v137
	v_add_f32_e32 v48, v56, v48
	v_add_f32_e32 v56, v46, v51
	v_mov_b32_e32 v58, v129
	v_sub_f32_e32 v141, v46, v51
	v_fmac_f32_e32 v58, 0xbf3f9e67, v56
	v_add_f32_e32 v59, v109, v112
	v_mul_f32_e32 v136, 0xbf29c268, v141
	v_sub_f32_e32 v140, v110, v111
	v_add_f32_e32 v49, v58, v49
	v_fma_f32 v58, v59, s14, -v136
	v_mul_f32_e32 v135, 0xbe750f2a, v140
	v_add_f32_e32 v143, v58, v48
	v_add_f32_e32 v58, v47, v50
	v_mov_b32_e32 v48, v135
	v_sub_f32_e32 v142, v47, v50
	v_fmac_f32_e32 v48, 0xbf788fa5, v58
	v_add_f32_e32 v93, v110, v111
	v_mul_f32_e32 v139, 0xbe750f2a, v142
	v_add_f32_e32 v48, v48, v49
	v_fma_f32 v49, v93, s15, -v139
	v_add_f32_e32 v49, v49, v143
	s_and_saveexec_b64 s[0:1], vcc
	s_cbranch_execz .LBB0_5
; %bb.4:
	v_mul_f32_e32 v155, 0x3df6dbef, v41
	v_mov_b32_e32 v143, v155
	v_mul_f32_e32 v156, 0xbf788fa5, v42
	v_fmac_f32_e32 v143, 0x3f7e222b, v131
	v_mov_b32_e32 v144, v156
	v_add_f32_e32 v143, v37, v143
	v_fmac_f32_e32 v144, 0x3e750f2a, v132
	v_mul_f32_e32 v169, 0xbeb58ec6, v43
	v_add_f32_e32 v143, v144, v143
	v_mov_b32_e32 v144, v169
	v_fmac_f32_e32 v144, 0xbf6f5d39, v133
	v_mul_f32_e32 v170, 0x3f62ad3f, v57
	v_add_f32_e32 v143, v144, v143
	v_mov_b32_e32 v144, v170
	v_fmac_f32_e32 v144, 0xbeedf032, v138
	v_mul_f32_e32 v171, 0x3f116cb1, v59
	v_add_f32_e32 v143, v144, v143
	v_mov_b32_e32 v144, v171
	v_fmac_f32_e32 v144, 0x3f52af12, v141
	v_mul_f32_e32 v172, 0xbf3f9e67, v93
	v_add_f32_e32 v143, v144, v143
	v_mov_b32_e32 v144, v172
	v_fmac_f32_e32 v144, 0x3f29c268, v142
	v_mul_f32_e32 v173, 0xbf7e222b, v124
	v_add_f32_e32 v144, v144, v143
	v_mov_b32_e32 v143, v173
	v_mul_f32_e32 v174, 0xbe750f2a, v125
	v_fmac_f32_e32 v143, 0x3df6dbef, v38
	v_mov_b32_e32 v145, v174
	v_add_f32_e32 v143, v36, v143
	v_fmac_f32_e32 v145, 0xbf788fa5, v39
	v_mul_f32_e32 v175, 0x3f6f5d39, v126
	v_add_f32_e32 v143, v145, v143
	v_mov_b32_e32 v145, v175
	v_fmac_f32_e32 v145, 0xbeb58ec6, v40
	v_mul_f32_e32 v176, 0x3eedf032, v134
	v_add_f32_e32 v143, v145, v143
	v_mov_b32_e32 v145, v176
	v_fmac_f32_e32 v145, 0x3f62ad3f, v45
	v_mul_f32_e32 v177, 0xbf52af12, v137
	v_add_f32_e32 v143, v145, v143
	v_mov_b32_e32 v145, v177
	v_fmac_f32_e32 v145, 0x3f116cb1, v56
	v_mul_f32_e32 v178, 0xbf29c268, v140
	v_add_f32_e32 v143, v145, v143
	v_mov_b32_e32 v145, v178
	v_fmac_f32_e32 v145, 0xbf3f9e67, v58
	v_mul_f32_e32 v153, 0xbeb58ec6, v41
	v_add_f32_e32 v143, v145, v143
	;; [unrolled: 24-line block ×4, first 2 shown]
	v_mov_b32_e32 v147, v151
	v_mul_f32_e32 v152, 0x3df6dbef, v42
	v_fmac_f32_e32 v147, 0x3f29c268, v131
	v_mov_b32_e32 v148, v152
	v_add_f32_e32 v147, v37, v147
	v_fmac_f32_e32 v148, 0xbf7e222b, v132
	v_mul_f32_e32 v189, 0x3f116cb1, v43
	v_add_f32_e32 v147, v148, v147
	v_mov_b32_e32 v148, v189
	v_mul_f32_e32 v157, 0x3f62ad3f, v38
	v_fmac_f32_e32 v148, 0x3f52af12, v133
	v_mul_f32_e32 v190, 0xbf788fa5, v57
	v_mul_f32_e32 v159, 0x3f116cb1, v39
	v_add_f32_e32 v147, v148, v147
	v_mov_b32_e32 v148, v190
	v_sub_f32_e32 v94, v157, v94
	v_mul_f32_e32 v161, 0x3df6dbef, v40
	v_fmac_f32_e32 v148, 0xbe750f2a, v138
	v_mul_f32_e32 v191, 0x3f62ad3f, v59
	v_add_f32_e32 v94, v36, v94
	v_sub_f32_e32 v120, v159, v120
	v_mul_f32_e32 v163, 0xbeb58ec6, v45
	v_add_f32_e32 v147, v148, v147
	v_mov_b32_e32 v148, v191
	v_add_f32_e32 v94, v120, v94
	v_sub_f32_e32 v120, v161, v121
	v_mul_f32_e32 v165, 0xbf3f9e67, v56
	v_fmac_f32_e32 v148, 0xbeedf032, v141
	v_mul_f32_e32 v192, 0xbeb58ec6, v93
	v_add_f32_e32 v94, v120, v94
	v_sub_f32_e32 v120, v163, v127
	v_mul_f32_e32 v167, 0xbf788fa5, v58
	v_add_f32_e32 v147, v148, v147
	v_mov_b32_e32 v148, v192
	v_add_f32_e32 v94, v120, v94
	v_sub_f32_e32 v120, v165, v129
	v_fmac_f32_e32 v148, 0x3f6f5d39, v142
	v_mul_f32_e32 v193, 0xbf29c268, v124
	v_add_f32_e32 v94, v120, v94
	v_sub_f32_e32 v120, v167, v135
	v_add_f32_e32 v148, v148, v147
	v_mov_b32_e32 v147, v193
	v_mul_f32_e32 v194, 0x3f7e222b, v125
	v_add_f32_e32 v121, v120, v94
	v_add_f32_e32 v94, v37, v105
	v_fmac_f32_e32 v147, 0xbf3f9e67, v38
	v_mov_b32_e32 v149, v194
	v_add_f32_e32 v94, v94, v106
	v_add_f32_e32 v147, v36, v147
	v_fmac_f32_e32 v149, 0x3df6dbef, v39
	v_mul_f32_e32 v195, 0xbf52af12, v126
	v_fmac_f32_e32 v155, 0xbf7e222b, v131
	v_add_f32_e32 v94, v94, v107
	v_add_f32_e32 v147, v149, v147
	v_mov_b32_e32 v149, v195
	v_add_f32_e32 v155, v37, v155
	v_fmac_f32_e32 v156, 0xbe750f2a, v132
	v_add_f32_e32 v94, v94, v108
	v_fmac_f32_e32 v149, 0x3f116cb1, v40
	v_mul_f32_e32 v196, 0x3e750f2a, v134
	v_add_f32_e32 v155, v156, v155
	v_fmac_f32_e32 v169, 0x3f6f5d39, v133
	v_add_f32_e32 v94, v94, v109
	v_add_f32_e32 v147, v149, v147
	v_mov_b32_e32 v149, v196
	v_add_f32_e32 v155, v169, v155
	v_fmac_f32_e32 v170, 0x3eedf032, v138
	v_add_f32_e32 v94, v94, v110
	v_fmac_f32_e32 v149, 0xbf788fa5, v45
	v_mul_f32_e32 v197, 0x3eedf032, v137
	v_add_f32_e32 v155, v170, v155
	;; [unrolled: 10-line block ×3, first 2 shown]
	v_fma_f32 v155, v38, s6, -v173
	v_add_f32_e32 v94, v94, v113
	v_add_f32_e32 v147, v149, v147
	v_mov_b32_e32 v149, v198
	v_add_f32_e32 v155, v36, v155
	v_fma_f32 v169, v39, s15, -v174
	v_add_f32_e32 v94, v94, v114
	v_fmac_f32_e32 v149, 0xbeb58ec6, v58
	v_mul_f32_e32 v199, 0xbe750f2a, v131
	v_add_f32_e32 v155, v169, v155
	v_fma_f32 v169, v40, s7, -v175
	v_add_f32_e32 v94, v94, v115
	v_add_f32_e32 v147, v149, v147
	v_mov_b32_e32 v149, v199
	v_mul_f32_e32 v200, 0x3eedf032, v132
	v_add_f32_e32 v155, v169, v155
	v_fma_f32 v169, v45, s4, -v176
	v_add_f32_e32 v106, v94, v117
	v_add_f32_e32 v94, v36, v116
	v_fmac_f32_e32 v149, 0xbf788fa5, v41
	v_mov_b32_e32 v150, v200
	v_add_f32_e32 v155, v169, v155
	v_fma_f32 v169, v56, s5, -v177
	v_add_f32_e32 v94, v94, v118
	v_add_f32_e32 v149, v37, v149
	v_fmac_f32_e32 v150, 0x3f62ad3f, v42
	v_mul_f32_e32 v201, 0xbf29c268, v133
	v_add_f32_e32 v155, v169, v155
	v_fma_f32 v169, v58, s14, -v178
	v_add_f32_e32 v94, v94, v119
	v_add_f32_e32 v149, v150, v149
	v_mov_b32_e32 v150, v201
	v_add_f32_e32 v155, v169, v155
	v_mul_f32_e32 v169, 0xbf52af12, v131
	v_add_f32_e32 v44, v94, v44
	v_fmac_f32_e32 v150, 0xbf3f9e67, v43
	v_mul_f32_e32 v202, 0x3f52af12, v138
	v_fmac_f32_e32 v151, 0xbf29c268, v131
	v_fmac_f32_e32 v153, 0xbf6f5d39, v131
	v_mov_b32_e32 v131, v169
	v_mul_f32_e32 v170, 0xbf6f5d39, v132
	v_add_f32_e32 v44, v44, v46
	v_add_f32_e32 v149, v150, v149
	v_mov_b32_e32 v150, v202
	v_fmac_f32_e32 v152, 0x3f7e222b, v132
	v_fmac_f32_e32 v154, 0x3f29c268, v132
	;; [unrolled: 1-line block ×3, first 2 shown]
	v_mov_b32_e32 v132, v170
	v_add_f32_e32 v44, v44, v47
	v_fmac_f32_e32 v150, 0x3f116cb1, v57
	v_mul_f32_e32 v203, 0xbf6f5d39, v141
	v_fmac_f32_e32 v189, 0xbf52af12, v133
	v_fmac_f32_e32 v179, 0x3eedf032, v133
	v_add_f32_e32 v131, v37, v131
	v_fmac_f32_e32 v132, 0xbeb58ec6, v42
	v_mul_f32_e32 v133, 0xbe750f2a, v133
	v_add_f32_e32 v44, v44, v50
	v_add_f32_e32 v149, v150, v149
	v_mov_b32_e32 v150, v203
	v_add_f32_e32 v131, v132, v131
	v_mov_b32_e32 v132, v133
	v_add_f32_e32 v44, v44, v51
	v_fmac_f32_e32 v150, 0xbeb58ec6, v59
	v_mul_f32_e32 v204, 0x3f7e222b, v142
	v_fmac_f32_e32 v190, 0x3e750f2a, v138
	v_fmac_f32_e32 v180, 0xbf7e222b, v138
	;; [unrolled: 1-line block ×3, first 2 shown]
	v_mul_f32_e32 v138, 0x3f29c268, v138
	v_add_f32_e32 v44, v44, v52
	v_add_f32_e32 v149, v150, v149
	v_mov_b32_e32 v150, v204
	v_add_f32_e32 v131, v132, v131
	v_mov_b32_e32 v132, v138
	v_add_f32_e32 v44, v44, v53
	v_fmac_f32_e32 v150, 0x3df6dbef, v93
	v_mul_f32_e32 v205, 0xbe750f2a, v124
	v_fmac_f32_e32 v191, 0x3eedf032, v141
	v_fmac_f32_e32 v181, 0x3e750f2a, v141
	;; [unrolled: 1-line block ×3, first 2 shown]
	v_mul_f32_e32 v141, 0x3f7e222b, v141
	v_add_f32_e32 v44, v44, v54
	v_add_f32_e32 v150, v150, v149
	v_fma_f32 v149, v38, s15, -v205
	v_mul_f32_e32 v206, 0x3eedf032, v125
	v_add_f32_e32 v151, v37, v151
	v_add_f32_e32 v153, v37, v153
	;; [unrolled: 1-line block ×3, first 2 shown]
	v_mov_b32_e32 v132, v141
	v_add_f32_e32 v105, v44, v55
	v_fma_f32 v44, v41, s15, -v199
	v_add_f32_e32 v149, v36, v149
	v_fma_f32 v207, v39, s4, -v206
	v_add_f32_e32 v151, v152, v151
	v_fmac_f32_e32 v192, 0xbf6f5d39, v142
	v_add_f32_e32 v153, v154, v153
	v_fmac_f32_e32 v182, 0x3f52af12, v142
	v_fmac_f32_e32 v132, 0x3df6dbef, v59
	v_mul_f32_e32 v142, 0x3eedf032, v142
	v_add_f32_e32 v44, v37, v44
	v_fma_f32 v46, v42, s4, -v200
	v_add_f32_e32 v149, v207, v149
	v_mul_f32_e32 v207, 0xbf29c268, v126
	v_add_f32_e32 v151, v189, v151
	v_add_f32_e32 v153, v179, v153
	;; [unrolled: 1-line block ×3, first 2 shown]
	v_mov_b32_e32 v132, v142
	v_add_f32_e32 v44, v46, v44
	v_fma_f32 v46, v43, s14, -v201
	v_mul_f32_e32 v158, 0x3f62ad3f, v41
	v_fma_f32 v208, v40, s14, -v207
	v_add_f32_e32 v151, v190, v151
	v_add_f32_e32 v153, v180, v153
	v_fmac_f32_e32 v132, 0x3f62ad3f, v93
	v_mul_f32_e32 v124, 0xbf52af12, v124
	v_add_f32_e32 v44, v46, v44
	v_fma_f32 v46, v57, s5, -v202
	v_mul_f32_e32 v160, 0x3f116cb1, v42
	v_add_f32_e32 v149, v208, v149
	v_mul_f32_e32 v208, 0x3f52af12, v134
	v_add_f32_e32 v151, v191, v151
	v_add_f32_e32 v153, v181, v153
	;; [unrolled: 1-line block ×3, first 2 shown]
	v_fma_f32 v131, v38, s5, -v124
	v_mul_f32_e32 v125, 0xbf6f5d39, v125
	v_add_f32_e32 v122, v122, v158
	v_add_f32_e32 v44, v46, v44
	v_fma_f32 v46, v59, s7, -v203
	v_mul_f32_e32 v162, 0x3df6dbef, v43
	v_fma_f32 v209, v45, s5, -v208
	v_add_f32_e32 v152, v192, v151
	v_fma_f32 v151, v38, s14, -v193
	v_add_f32_e32 v154, v182, v153
	;; [unrolled: 2-line block ×3, first 2 shown]
	v_fma_f32 v171, v39, s7, -v125
	v_mul_f32_e32 v126, 0xbe750f2a, v126
	v_add_f32_e32 v122, v37, v122
	v_add_f32_e32 v123, v123, v160
	;; [unrolled: 1-line block ×3, first 2 shown]
	v_fma_f32 v46, v93, s6, -v204
	v_fmac_f32_e32 v205, 0xbf788fa5, v38
	v_fma_f32 v41, v41, s5, -v169
	v_fmac_f32_e32 v124, 0x3f116cb1, v38
	v_mul_f32_e32 v164, 0xbeb58ec6, v57
	v_add_f32_e32 v149, v209, v149
	v_mul_f32_e32 v209, 0xbf6f5d39, v137
	v_add_f32_e32 v151, v36, v151
	v_fma_f32 v189, v39, s6, -v194
	v_add_f32_e32 v153, v36, v153
	v_fma_f32 v179, v39, s14, -v184
	;; [unrolled: 2-line block ×3, first 2 shown]
	v_mul_f32_e32 v134, 0x3f29c268, v134
	v_add_f32_e32 v122, v123, v122
	v_add_f32_e32 v123, v128, v162
	;; [unrolled: 1-line block ×4, first 2 shown]
	v_fmac_f32_e32 v206, 0x3f62ad3f, v39
	v_add_f32_e32 v37, v37, v41
	v_fma_f32 v41, v42, s7, -v170
	v_add_f32_e32 v36, v36, v124
	v_fmac_f32_e32 v125, 0xbeb58ec6, v39
	v_mul_f32_e32 v166, 0xbf3f9e67, v59
	v_fma_f32 v210, v56, s7, -v209
	v_add_f32_e32 v151, v189, v151
	v_fma_f32 v189, v40, s5, -v195
	v_add_f32_e32 v153, v179, v153
	;; [unrolled: 2-line block ×3, first 2 shown]
	v_fma_f32 v171, v45, s14, -v134
	v_mul_f32_e32 v137, 0x3f7e222b, v137
	v_add_f32_e32 v122, v123, v122
	v_add_f32_e32 v123, v130, v164
	;; [unrolled: 1-line block ×3, first 2 shown]
	v_fmac_f32_e32 v207, 0xbf3f9e67, v40
	v_add_f32_e32 v37, v41, v37
	v_fma_f32 v41, v43, s15, -v133
	v_add_f32_e32 v36, v125, v36
	v_fmac_f32_e32 v126, 0xbf788fa5, v40
	v_mul_f32_e32 v168, 0xbf788fa5, v93
	v_add_f32_e32 v149, v210, v149
	v_mul_f32_e32 v210, 0x3f7e222b, v140
	v_add_f32_e32 v151, v189, v151
	v_fma_f32 v189, v45, s15, -v196
	v_add_f32_e32 v153, v179, v153
	v_fma_f32 v179, v45, s6, -v186
	;; [unrolled: 2-line block ×3, first 2 shown]
	v_mul_f32_e32 v140, 0x3eedf032, v140
	v_add_f32_e32 v122, v123, v122
	v_add_f32_e32 v123, v136, v166
	;; [unrolled: 1-line block ×3, first 2 shown]
	v_fmac_f32_e32 v208, 0x3f116cb1, v45
	v_add_f32_e32 v37, v41, v37
	v_fma_f32 v41, v57, s14, -v138
	v_add_f32_e32 v36, v126, v36
	v_fmac_f32_e32 v134, 0xbf3f9e67, v45
	v_add_f32_e32 v151, v189, v151
	v_fma_f32 v189, v56, s4, -v197
	v_add_f32_e32 v153, v179, v153
	v_fma_f32 v179, v56, s15, -v187
	;; [unrolled: 2-line block ×3, first 2 shown]
	v_add_f32_e32 v122, v123, v122
	v_add_f32_e32 v123, v139, v168
	;; [unrolled: 1-line block ×3, first 2 shown]
	v_fmac_f32_e32 v209, 0xbeb58ec6, v56
	v_add_f32_e32 v37, v41, v37
	v_fma_f32 v41, v59, s6, -v141
	v_add_f32_e32 v36, v134, v36
	v_fmac_f32_e32 v137, 0x3df6dbef, v56
	v_fma_f32 v211, v58, s6, -v210
	v_add_f32_e32 v151, v189, v151
	v_fma_f32 v189, v58, s7, -v198
	v_add_f32_e32 v153, v179, v153
	;; [unrolled: 2-line block ×3, first 2 shown]
	v_add_f32_e32 v122, v123, v122
	v_add_f32_e32 v44, v209, v44
	v_fmac_f32_e32 v210, 0x3df6dbef, v58
	v_add_f32_e32 v37, v41, v37
	v_fma_f32 v41, v93, s4, -v142
	v_add_f32_e32 v36, v137, v36
	v_fmac_f32_e32 v140, 0x3f62ad3f, v58
	v_lshl_add_u32 v38, v95, 3, v97
	v_add_f32_e32 v149, v211, v149
	v_add_f32_e32 v151, v189, v151
	;; [unrolled: 1-line block ×6, first 2 shown]
	ds_write_b64 v96, v[105:106]
	ds_write2_b64 v38, v[121:122], v[131:132] offset0:12 offset1:24
	ds_write2_b64 v38, v[155:156], v[153:154] offset0:36 offset1:48
	ds_write2_b64 v38, v[151:152], v[149:150] offset0:60 offset1:72
	ds_write2_b64 v38, v[46:47], v[147:148] offset0:84 offset1:96
	ds_write2_b64 v38, v[145:146], v[143:144] offset0:108 offset1:120
	ds_write2_b64 v38, v[36:37], v[48:49] offset0:132 offset1:144
.LBB0_5:
	s_or_b64 exec, exec, s[0:1]
	s_waitcnt lgkmcnt(0)
	s_barrier
	global_load_dwordx2 v[58:59], v[91:92], off offset:1248
	s_add_u32 s0, s12, 0x4e0
	s_addc_u32 s1, s13, 0
	v_lshlrev_b32_e32 v36, 3, v95
	global_load_dwordx2 v[105:106], v36, s[0:1] offset:416
	global_load_dwordx2 v[107:108], v36, s[0:1] offset:832
	global_load_dwordx2 v[109:110], v36, s[0:1] offset:104
	global_load_dwordx2 v[111:112], v36, s[0:1] offset:520
	global_load_dwordx2 v[113:114], v36, s[0:1] offset:936
	global_load_dwordx2 v[115:116], v36, s[0:1] offset:208
	global_load_dwordx2 v[117:118], v36, s[0:1] offset:624
	global_load_dwordx2 v[119:120], v36, s[0:1] offset:1040
	global_load_dwordx2 v[121:122], v36, s[0:1] offset:312
	global_load_dwordx2 v[123:124], v36, s[0:1] offset:728
	global_load_dwordx2 v[125:126], v36, s[0:1] offset:1144
	ds_read2_b64 v[36:39], v96 offset1:13
	ds_read2_b64 v[40:43], v96 offset0:52 offset1:65
	ds_read2_b64 v[44:47], v96 offset0:104 offset1:117
	;; [unrolled: 1-line block ×5, first 2 shown]
	s_waitcnt vmcnt(8) lgkmcnt(5)
	v_mul_f32_e32 v129, v39, v110
	s_waitcnt vmcnt(7) lgkmcnt(4)
	v_mul_f32_e32 v130, v43, v112
	;; [unrolled: 2-line block ×4, first 2 shown]
	v_mul_f32_e32 v127, v37, v59
	v_mul_f32_e32 v128, v36, v59
	v_fma_f32 v127, v36, v58, -v127
	v_fmac_f32_e32 v128, v37, v58
	v_mul_f32_e32 v36, v41, v106
	v_mul_f32_e32 v37, v40, v106
	;; [unrolled: 1-line block ×8, first 2 shown]
	s_waitcnt vmcnt(4) lgkmcnt(1)
	v_mul_f32_e32 v133, v55, v118
	v_mul_f32_e32 v114, v54, v118
	s_waitcnt vmcnt(3) lgkmcnt(0)
	v_mul_f32_e32 v134, v92, v120
	v_mul_f32_e32 v116, v91, v120
	s_waitcnt vmcnt(2)
	v_mul_f32_e32 v135, v53, v122
	v_mul_f32_e32 v118, v52, v122
	s_waitcnt vmcnt(1)
	;; [unrolled: 3-line block ×3, first 2 shown]
	v_mul_f32_e32 v124, v94, v126
	v_mul_f32_e32 v122, v93, v126
	v_fma_f32 v36, v40, v105, -v36
	v_fmac_f32_e32 v37, v41, v105
	v_fma_f32 v105, v38, v109, -v129
	v_fmac_f32_e32 v106, v39, v109
	;; [unrolled: 2-line block ×11, first 2 shown]
	ds_write2_b64 v96, v[127:128], v[105:106] offset1:13
	ds_write2_b64 v96, v[36:37], v[107:108] offset0:52 offset1:65
	ds_write2_b64 v96, v[58:59], v[109:110] offset0:104 offset1:117
	;; [unrolled: 1-line block ×5, first 2 shown]
	s_waitcnt lgkmcnt(0)
	s_barrier
	ds_read2_b64 v[36:39], v96 offset1:13
	ds_read2_b64 v[40:43], v96 offset0:52 offset1:65
	ds_read2_b64 v[44:47], v96 offset0:104 offset1:117
	;; [unrolled: 1-line block ×5, first 2 shown]
	s_waitcnt lgkmcnt(4)
	v_add_f32_e32 v58, v36, v40
	s_waitcnt lgkmcnt(3)
	v_add_f32_e32 v59, v40, v44
	v_fma_f32 v36, -0.5, v59, v36
	v_sub_f32_e32 v59, v41, v45
	v_mov_b32_e32 v105, v36
	v_fmac_f32_e32 v105, 0xbf5db3d7, v59
	v_fmac_f32_e32 v36, 0x3f5db3d7, v59
	v_add_f32_e32 v59, v37, v41
	v_add_f32_e32 v41, v41, v45
	v_fma_f32 v37, -0.5, v41, v37
	v_sub_f32_e32 v40, v40, v44
	v_mov_b32_e32 v106, v37
	v_add_f32_e32 v41, v42, v46
	v_fmac_f32_e32 v106, 0x3f5db3d7, v40
	v_fmac_f32_e32 v37, 0xbf5db3d7, v40
	v_add_f32_e32 v40, v38, v42
	v_fma_f32 v38, -0.5, v41, v38
	v_add_f32_e32 v58, v58, v44
	v_sub_f32_e32 v41, v43, v47
	v_mov_b32_e32 v44, v38
	v_fmac_f32_e32 v44, 0xbf5db3d7, v41
	v_fmac_f32_e32 v38, 0x3f5db3d7, v41
	v_add_f32_e32 v41, v39, v43
	v_add_f32_e32 v43, v43, v47
	v_fmac_f32_e32 v39, -0.5, v43
	s_waitcnt lgkmcnt(0)
	v_add_f32_e32 v43, v54, v91
	v_add_f32_e32 v59, v59, v45
	;; [unrolled: 1-line block ×4, first 2 shown]
	v_sub_f32_e32 v42, v42, v46
	v_mov_b32_e32 v45, v39
	v_fma_f32 v46, -0.5, v43, v50
	v_add_f32_e32 v47, v55, v92
	v_fmac_f32_e32 v45, 0x3f5db3d7, v42
	v_fmac_f32_e32 v39, 0xbf5db3d7, v42
	v_add_f32_e32 v42, v50, v54
	v_sub_f32_e32 v43, v55, v92
	v_mov_b32_e32 v50, v46
	v_fma_f32 v47, -0.5, v47, v51
	v_fmac_f32_e32 v50, 0xbf5db3d7, v43
	v_fmac_f32_e32 v46, 0x3f5db3d7, v43
	v_add_f32_e32 v43, v51, v55
	v_sub_f32_e32 v54, v54, v91
	v_mov_b32_e32 v51, v47
	v_add_f32_e32 v55, v56, v93
	v_fmac_f32_e32 v51, 0x3f5db3d7, v54
	v_fmac_f32_e32 v47, 0xbf5db3d7, v54
	v_add_f32_e32 v54, v52, v56
	v_fma_f32 v52, -0.5, v55, v52
	v_add_f32_e32 v42, v42, v91
	v_sub_f32_e32 v55, v57, v94
	v_mov_b32_e32 v91, v52
	v_fmac_f32_e32 v91, 0xbf5db3d7, v55
	v_fmac_f32_e32 v52, 0x3f5db3d7, v55
	v_add_f32_e32 v55, v53, v57
	v_add_f32_e32 v57, v57, v94
	v_fmac_f32_e32 v53, -0.5, v57
	v_add_f32_e32 v43, v43, v92
	v_sub_f32_e32 v56, v56, v93
	v_mov_b32_e32 v92, v53
	v_add_f32_e32 v54, v54, v93
	v_add_f32_e32 v55, v55, v94
	v_fmac_f32_e32 v92, 0x3f5db3d7, v56
	v_fmac_f32_e32 v53, 0xbf5db3d7, v56
	s_barrier
	ds_write2_b64 v98, v[58:59], v[105:106] offset1:1
	ds_write_b64 v98, v[36:37] offset:16
	ds_write2_b64 v99, v[40:41], v[44:45] offset1:1
	ds_write_b64 v99, v[38:39] offset:16
	;; [unrolled: 2-line block ×4, first 2 shown]
	s_waitcnt lgkmcnt(0)
	s_barrier
	ds_read2_b64 v[38:41], v96 offset1:13
	ds_read2_b64 v[42:45], v96 offset0:26 offset1:39
	ds_read2_b64 v[50:53], v96 offset0:78 offset1:91
	;; [unrolled: 1-line block ×5, first 2 shown]
	s_waitcnt lgkmcnt(4)
	v_mul_f32_e32 v36, v1, v45
	v_mul_f32_e32 v1, v1, v44
	v_fmac_f32_e32 v36, v0, v44
	v_fma_f32 v0, v0, v45, -v1
	s_waitcnt lgkmcnt(3)
	v_mul_f32_e32 v1, v3, v51
	v_mul_f32_e32 v3, v3, v50
	s_waitcnt lgkmcnt(1)
	v_mul_f32_e32 v46, v5, v94
	v_mul_f32_e32 v5, v5, v93
	v_fmac_f32_e32 v1, v2, v50
	v_fma_f32 v2, v2, v51, -v3
	v_mul_f32_e32 v3, v86, v57
	v_mul_f32_e32 v37, v86, v56
	;; [unrolled: 1-line block ×4, first 2 shown]
	v_fmac_f32_e32 v46, v4, v93
	v_fma_f32 v47, v4, v94, -v5
	v_mul_f32_e32 v4, v7, v54
	v_fmac_f32_e32 v3, v85, v56
	v_fma_f32 v37, v85, v57, -v37
	v_fmac_f32_e32 v44, v8, v91
	v_fma_f32 v8, v8, v92, -v9
	v_mul_f32_e32 v9, v11, v53
	v_mul_f32_e32 v11, v11, v52
	;; [unrolled: 1-line block ×3, first 2 shown]
	v_fma_f32 v51, v6, v55, -v4
	s_waitcnt lgkmcnt(0)
	v_mul_f32_e32 v4, v88, v100
	v_fmac_f32_e32 v9, v10, v52
	v_fma_f32 v10, v10, v53, -v11
	v_mul_f32_e32 v11, v90, v99
	v_mul_f32_e32 v45, v90, v98
	v_fmac_f32_e32 v50, v6, v54
	v_fma_f32 v53, v87, v101, -v4
	v_sub_f32_e32 v4, v38, v1
	v_sub_f32_e32 v5, v39, v2
	v_sub_f32_e32 v3, v36, v3
	v_sub_f32_e32 v6, v0, v37
	v_fmac_f32_e32 v11, v89, v98
	v_fma_f32 v45, v89, v99, -v45
	v_mul_f32_e32 v52, v88, v101
	v_fma_f32 v1, v38, 2.0, -v4
	v_fma_f32 v2, v39, 2.0, -v5
	;; [unrolled: 1-line block ×4, first 2 shown]
	v_fmac_f32_e32 v52, v87, v100
	v_sub_f32_e32 v36, v1, v7
	v_sub_f32_e32 v37, v2, v0
	v_add_f32_e32 v38, v4, v6
	v_sub_f32_e32 v39, v5, v3
	v_sub_f32_e32 v54, v40, v9
	;; [unrolled: 1-line block ×7, first 2 shown]
	v_fma_f32 v0, v1, 2.0, -v36
	v_fma_f32 v1, v2, 2.0, -v37
	;; [unrolled: 1-line block ×10, first 2 shown]
	v_sub_f32_e32 v42, v46, v52
	v_sub_f32_e32 v43, v47, v53
	;; [unrolled: 1-line block ×4, first 2 shown]
	v_fma_f32 v44, v46, 2.0, -v42
	v_fma_f32 v45, v47, 2.0, -v43
	;; [unrolled: 1-line block ×4, first 2 shown]
	v_add_f32_e32 v6, v54, v11
	v_sub_f32_e32 v7, v55, v10
	v_sub_f32_e32 v44, v40, v44
	;; [unrolled: 1-line block ×3, first 2 shown]
	v_add_f32_e32 v46, v50, v43
	v_sub_f32_e32 v47, v51, v42
	v_fma_f32 v10, v54, 2.0, -v6
	v_fma_f32 v11, v55, 2.0, -v7
	;; [unrolled: 1-line block ×6, first 2 shown]
	s_barrier
	ds_write2_b64 v104, v[0:1], v[2:3] offset1:3
	ds_write2_b64 v104, v[36:37], v[38:39] offset0:6 offset1:9
	ds_write2_b64 v103, v[8:9], v[10:11] offset1:3
	ds_write2_b64 v103, v[4:5], v[6:7] offset0:6 offset1:9
	;; [unrolled: 2-line block ×3, first 2 shown]
	s_waitcnt lgkmcnt(0)
	s_barrier
	s_and_saveexec_b64 s[0:1], vcc
	s_cbranch_execz .LBB0_7
; %bb.6:
	ds_read2_b64 v[0:3], v96 offset1:12
	ds_read2_b64 v[36:39], v96 offset0:24 offset1:36
	ds_read2_b64 v[8:11], v96 offset0:48 offset1:60
	;; [unrolled: 1-line block ×5, first 2 shown]
	ds_read_b64 v[48:49], v96 offset:1152
.LBB0_7:
	s_or_b64 exec, exec, s[0:1]
	s_and_saveexec_b64 s[0:1], vcc
	s_cbranch_execz .LBB0_9
; %bb.8:
	s_waitcnt lgkmcnt(6)
	v_mul_f32_e32 v51, v25, v3
	s_waitcnt lgkmcnt(0)
	v_mul_f32_e32 v52, v35, v49
	v_fmac_f32_e32 v51, v24, v2
	v_fmac_f32_e32 v52, v34, v48
	v_sub_f32_e32 v50, v51, v52
	v_mul_f32_e32 v35, v35, v48
	v_mul_f32_e32 v2, v25, v2
	;; [unrolled: 1-line block ×3, first 2 shown]
	v_fma_f32 v34, v34, v49, -v35
	v_fma_f32 v24, v24, v3, -v2
	v_add_f32_e32 v25, v34, v24
	v_mov_b32_e32 v2, v53
	v_mul_f32_e32 v35, v27, v37
	v_mul_f32_e32 v48, v33, v47
	v_fmac_f32_e32 v2, 0x3df6dbef, v25
	v_fmac_f32_e32 v35, v26, v36
	;; [unrolled: 1-line block ×3, first 2 shown]
	v_add_f32_e32 v3, v1, v2
	v_sub_f32_e32 v2, v35, v48
	v_mul_f32_e32 v33, v33, v46
	v_mul_f32_e32 v27, v27, v36
	;; [unrolled: 1-line block ×3, first 2 shown]
	v_fma_f32 v32, v32, v47, -v33
	v_fma_f32 v26, v26, v37, -v27
	v_add_f32_e32 v27, v32, v26
	v_mov_b32_e32 v33, v49
	v_fmac_f32_e32 v33, 0xbf788fa5, v27
	v_add_f32_e32 v3, v33, v3
	v_mul_f32_e32 v33, v21, v39
	v_mul_f32_e32 v36, v31, v45
	v_fmac_f32_e32 v33, v20, v38
	v_fmac_f32_e32 v36, v30, v44
	v_sub_f32_e32 v37, v33, v36
	v_mul_f32_e32 v31, v31, v44
	v_mul_f32_e32 v21, v21, v38
	;; [unrolled: 1-line block ×3, first 2 shown]
	v_fma_f32 v30, v30, v45, -v31
	v_fma_f32 v21, v20, v39, -v21
	v_add_f32_e32 v20, v30, v21
	v_mov_b32_e32 v31, v46
	v_fmac_f32_e32 v31, 0xbeb58ec6, v20
	v_add_f32_e32 v3, v31, v3
	v_mul_f32_e32 v31, v23, v9
	v_mul_f32_e32 v38, v29, v43
	v_fmac_f32_e32 v31, v22, v8
	v_fmac_f32_e32 v38, v28, v42
	v_sub_f32_e32 v39, v31, v38
	v_mul_f32_e32 v29, v29, v42
	v_mul_f32_e32 v8, v23, v8
	;; [unrolled: 1-line block ×3, first 2 shown]
	v_fma_f32 v28, v28, v43, -v29
	v_fma_f32 v22, v22, v9, -v8
	v_add_f32_e32 v23, v28, v22
	v_mov_b32_e32 v8, v44
	v_fmac_f32_e32 v8, 0x3f62ad3f, v23
	v_mul_f32_e32 v29, v13, v11
	v_mul_f32_e32 v42, v19, v41
	v_add_f32_e32 v3, v8, v3
	v_fmac_f32_e32 v29, v12, v10
	v_fmac_f32_e32 v42, v18, v40
	v_mul_f32_e32 v8, v19, v40
	v_mul_f32_e32 v47, v15, v5
	;; [unrolled: 1-line block ×3, first 2 shown]
	v_sub_f32_e32 v43, v29, v42
	v_fma_f32 v40, v18, v41, -v8
	v_mul_f32_e32 v8, v13, v10
	v_fmac_f32_e32 v47, v14, v4
	v_fmac_f32_e32 v54, v16, v6
	v_mul_f32_e32 v45, 0xbf52af12, v43
	v_fma_f32 v41, v12, v11, -v8
	v_sub_f32_e32 v55, v47, v54
	v_mul_f32_e32 v6, v17, v6
	v_mul_f32_e32 v4, v15, v4
	v_add_f32_e32 v19, v40, v41
	v_mov_b32_e32 v8, v45
	v_mul_f32_e32 v18, 0xbf29c268, v55
	v_fma_f32 v56, v16, v7, -v6
	v_fma_f32 v57, v14, v5, -v4
	v_fmac_f32_e32 v8, 0x3f116cb1, v19
	v_add_f32_e32 v58, v56, v57
	v_mov_b32_e32 v4, v18
	v_sub_f32_e32 v85, v24, v34
	s_mov_b32 s4, 0x3df6dbef
	v_add_f32_e32 v3, v8, v3
	v_fmac_f32_e32 v4, 0xbf3f9e67, v58
	v_add_f32_e32 v59, v52, v51
	v_mul_f32_e32 v15, 0xbf7e222b, v85
	v_sub_f32_e32 v87, v26, v32
	s_mov_b32 s5, 0xbf788fa5
	v_add_f32_e32 v4, v4, v3
	v_fma_f32 v3, v59, s4, -v15
	v_add_f32_e32 v86, v48, v35
	v_mul_f32_e32 v17, 0xbe750f2a, v87
	v_sub_f32_e32 v89, v21, v30
	s_mov_b32 s6, 0xbeb58ec6
	v_add_f32_e32 v3, v0, v3
	v_fma_f32 v5, v86, s5, -v17
	;; [unrolled: 6-line block ×5, first 2 shown]
	v_add_f32_e32 v100, v54, v47
	v_mul_f32_e32 v102, 0xbf29c268, v101
	v_add_f32_e32 v3, v5, v3
	v_fma_f32 v5, v100, s13, -v102
	v_mul_f32_e32 v13, 0xbf6f5d39, v50
	v_add_f32_e32 v3, v5, v3
	v_mov_b32_e32 v5, v13
	v_mul_f32_e32 v14, 0x3f29c268, v2
	v_fmac_f32_e32 v5, 0xbeb58ec6, v25
	v_mov_b32_e32 v6, v14
	v_add_f32_e32 v5, v1, v5
	v_fmac_f32_e32 v6, 0xbf3f9e67, v27
	v_mul_f32_e32 v16, 0x3eedf032, v37
	v_add_f32_e32 v5, v6, v5
	v_mov_b32_e32 v6, v16
	v_fmac_f32_e32 v6, 0x3f62ad3f, v20
	v_mul_f32_e32 v103, 0xbf7e222b, v39
	v_fma_f32 v13, v25, s6, -v13
	v_add_f32_e32 v5, v6, v5
	v_mov_b32_e32 v6, v103
	v_add_f32_e32 v13, v1, v13
	v_fma_f32 v14, v27, s13, -v14
	v_fmac_f32_e32 v6, 0x3df6dbef, v23
	v_mul_f32_e32 v104, 0x3e750f2a, v43
	v_add_f32_e32 v13, v14, v13
	v_fma_f32 v14, v20, s7, -v16
	v_fma_f32 v16, v25, s4, -v53
	v_add_f32_e32 v5, v6, v5
	v_mov_b32_e32 v6, v104
	v_add_f32_e32 v16, v1, v16
	v_fma_f32 v49, v27, s5, -v49
	v_fmac_f32_e32 v6, 0xbf788fa5, v19
	v_mul_f32_e32 v105, 0x3f52af12, v55
	v_add_f32_e32 v16, v49, v16
	v_fma_f32 v46, v20, s6, -v46
	v_add_f32_e32 v5, v6, v5
	v_mov_b32_e32 v6, v105
	v_add_f32_e32 v16, v46, v16
	v_fma_f32 v44, v23, s7, -v44
	v_fmac_f32_e32 v6, 0x3f116cb1, v58
	v_mul_f32_e32 v106, 0xbf6f5d39, v85
	v_add_f32_e32 v16, v44, v16
	v_fma_f32 v44, v19, s12, -v45
	v_fmac_f32_e32 v15, 0x3df6dbef, v59
	v_add_f32_e32 v6, v6, v5
	v_fma_f32 v5, v59, s6, -v106
	v_mul_f32_e32 v107, 0x3f29c268, v87
	v_add_f32_e32 v16, v44, v16
	v_add_f32_e32 v15, v0, v15
	v_fmac_f32_e32 v17, 0xbf788fa5, v86
	v_mul_f32_e32 v44, 0x3f116cb1, v25
	v_add_f32_e32 v5, v0, v5
	v_fma_f32 v7, v86, s13, -v107
	v_mul_f32_e32 v108, 0x3eedf032, v89
	v_fma_f32 v18, v58, s13, -v18
	v_add_f32_e32 v15, v17, v15
	v_mov_b32_e32 v17, v44
	v_mul_f32_e32 v45, 0xbeb58ec6, v27
	v_add_f32_e32 v5, v7, v5
	v_fma_f32 v7, v88, s7, -v108
	v_mul_f32_e32 v109, 0xbf7e222b, v92
	v_add_f32_e32 v16, v18, v16
	v_fmac_f32_e32 v17, 0x3f52af12, v50
	v_mov_b32_e32 v18, v45
	v_add_f32_e32 v5, v7, v5
	v_fma_f32 v7, v91, s4, -v109
	v_mul_f32_e32 v110, 0x3e750f2a, v98
	v_add_f32_e32 v17, v1, v17
	v_fmac_f32_e32 v18, 0x3f6f5d39, v2
	v_mul_f32_e32 v46, 0xbf788fa5, v20
	v_add_f32_e32 v5, v7, v5
	v_fma_f32 v7, v94, s5, -v110
	v_mul_f32_e32 v111, 0x3f52af12, v101
	v_add_f32_e32 v17, v18, v17
	v_mov_b32_e32 v18, v46
	v_add_f32_e32 v5, v7, v5
	v_fma_f32 v7, v100, s12, -v111
	v_mul_f32_e32 v11, 0xbf29c268, v50
	v_fmac_f32_e32 v18, 0x3e750f2a, v37
	v_mul_f32_e32 v49, 0xbf3f9e67, v23
	v_add_f32_e32 v5, v7, v5
	v_mov_b32_e32 v7, v11
	v_mul_f32_e32 v12, 0x3f7e222b, v2
	v_add_f32_e32 v17, v18, v17
	v_mov_b32_e32 v18, v49
	v_fmac_f32_e32 v7, 0xbf3f9e67, v25
	v_mov_b32_e32 v8, v12
	v_fmac_f32_e32 v18, 0xbf29c268, v39
	v_mul_f32_e32 v53, 0x3df6dbef, v19
	v_add_f32_e32 v7, v1, v7
	v_fmac_f32_e32 v8, 0x3df6dbef, v27
	v_mul_f32_e32 v112, 0xbf52af12, v37
	v_fmac_f32_e32 v90, 0xbeb58ec6, v88
	v_add_f32_e32 v17, v18, v17
	v_mov_b32_e32 v18, v53
	v_add_f32_e32 v7, v8, v7
	v_mov_b32_e32 v8, v112
	v_add_f32_e32 v15, v90, v15
	v_fmac_f32_e32 v18, 0xbf7e222b, v43
	v_mul_f32_e32 v90, 0x3f62ad3f, v58
	v_fmac_f32_e32 v8, 0x3f116cb1, v20
	v_mul_f32_e32 v113, 0x3e750f2a, v39
	v_fmac_f32_e32 v93, 0x3f62ad3f, v91
	v_add_f32_e32 v17, v18, v17
	v_mov_b32_e32 v18, v90
	v_add_f32_e32 v7, v8, v7
	v_mov_b32_e32 v8, v113
	v_add_f32_e32 v15, v93, v15
	v_fmac_f32_e32 v99, 0x3f116cb1, v94
	v_fmac_f32_e32 v18, 0xbeedf032, v55
	v_mul_f32_e32 v93, 0xbf52af12, v85
	v_fmac_f32_e32 v8, 0xbf788fa5, v23
	v_mul_f32_e32 v114, 0x3eedf032, v43
	v_add_f32_e32 v15, v99, v15
	v_fmac_f32_e32 v102, 0xbf3f9e67, v100
	v_add_f32_e32 v18, v18, v17
	v_mov_b32_e32 v17, v93
	v_mul_f32_e32 v99, 0xbf6f5d39, v87
	v_add_f32_e32 v7, v8, v7
	v_mov_b32_e32 v8, v114
	v_add_f32_e32 v15, v102, v15
	v_fmac_f32_e32 v17, 0x3f116cb1, v59
	v_mov_b32_e32 v102, v99
	v_fmac_f32_e32 v8, 0x3f62ad3f, v19
	v_mul_f32_e32 v115, 0xbf6f5d39, v55
	v_add_f32_e32 v17, v0, v17
	v_fmac_f32_e32 v102, 0xbeb58ec6, v86
	v_add_f32_e32 v7, v8, v7
	v_mov_b32_e32 v8, v115
	v_add_f32_e32 v17, v102, v17
	v_mul_f32_e32 v102, 0xbe750f2a, v89
	v_fmac_f32_e32 v8, 0xbeb58ec6, v58
	v_mul_f32_e32 v116, 0xbf29c268, v85
	v_add_f32_e32 v13, v14, v13
	v_fma_f32 v14, v23, s4, -v103
	v_mov_b32_e32 v103, v102
	v_add_f32_e32 v8, v8, v7
	v_fma_f32 v7, v59, s13, -v116
	v_mul_f32_e32 v117, 0x3f7e222b, v87
	v_fmac_f32_e32 v103, 0xbf788fa5, v88
	v_add_f32_e32 v7, v0, v7
	v_fma_f32 v9, v86, s4, -v117
	v_mul_f32_e32 v118, 0xbf52af12, v89
	v_add_f32_e32 v17, v103, v17
	v_mul_f32_e32 v103, 0x3f29c268, v92
	v_add_f32_e32 v7, v9, v7
	v_fma_f32 v9, v88, s12, -v118
	v_mul_f32_e32 v119, 0x3e750f2a, v92
	v_add_f32_e32 v13, v14, v13
	v_fma_f32 v14, v19, s5, -v104
	v_mov_b32_e32 v104, v103
	v_add_f32_e32 v7, v9, v7
	v_fma_f32 v9, v91, s5, -v119
	v_mul_f32_e32 v120, 0x3eedf032, v98
	v_fmac_f32_e32 v104, 0xbf3f9e67, v91
	v_add_f32_e32 v7, v9, v7
	v_fma_f32 v9, v94, s7, -v120
	v_mul_f32_e32 v121, 0xbf6f5d39, v101
	v_add_f32_e32 v17, v104, v17
	v_mul_f32_e32 v104, 0x3f7e222b, v98
	v_add_f32_e32 v7, v9, v7
	v_fma_f32 v9, v100, s6, -v121
	v_mul_f32_e32 v122, 0xbf788fa5, v25
	v_add_f32_e32 v13, v14, v13
	v_fma_f32 v14, v58, s12, -v105
	v_mov_b32_e32 v105, v104
	v_add_f32_e32 v7, v9, v7
	v_mov_b32_e32 v9, v122
	v_mul_f32_e32 v123, 0x3f62ad3f, v27
	v_fmac_f32_e32 v105, 0x3df6dbef, v94
	v_fmac_f32_e32 v9, 0x3e750f2a, v50
	v_mov_b32_e32 v10, v123
	v_fmac_f32_e32 v106, 0xbeb58ec6, v59
	v_add_f32_e32 v17, v105, v17
	v_mul_f32_e32 v105, 0x3eedf032, v101
	v_add_f32_e32 v9, v1, v9
	v_fmac_f32_e32 v10, 0xbeedf032, v2
	v_mul_f32_e32 v124, 0xbf3f9e67, v20
	v_add_f32_e32 v14, v14, v13
	v_add_f32_e32 v13, v0, v106
	v_mov_b32_e32 v106, v105
	v_add_f32_e32 v9, v10, v9
	v_mov_b32_e32 v10, v124
	v_fmac_f32_e32 v106, 0x3f62ad3f, v100
	v_fmac_f32_e32 v10, 0x3f29c268, v37
	v_mul_f32_e32 v125, 0x3f116cb1, v23
	v_add_f32_e32 v17, v106, v17
	v_mul_f32_e32 v106, 0x3f62ad3f, v25
	v_add_f32_e32 v9, v10, v9
	v_mov_b32_e32 v10, v125
	v_fma_f32 v11, v25, s13, -v11
	v_fma_f32 v12, v27, s4, -v12
	v_fmac_f32_e32 v107, 0xbf3f9e67, v86
	v_mov_b32_e32 v25, v106
	v_mul_f32_e32 v27, 0x3f116cb1, v27
	v_fmac_f32_e32 v10, 0xbf52af12, v39
	v_mul_f32_e32 v126, 0xbeb58ec6, v19
	v_add_f32_e32 v13, v107, v13
	v_fmac_f32_e32 v25, 0x3eedf032, v50
	v_mov_b32_e32 v107, v27
	v_add_f32_e32 v9, v10, v9
	v_mov_b32_e32 v10, v126
	v_add_f32_e32 v25, v1, v25
	v_fmac_f32_e32 v107, 0x3f52af12, v2
	v_fmac_f32_e32 v10, 0x3f6f5d39, v43
	v_mul_f32_e32 v127, 0x3df6dbef, v58
	v_add_f32_e32 v11, v1, v11
	v_fmac_f32_e32 v108, 0x3f62ad3f, v88
	v_add_f32_e32 v25, v107, v25
	v_mul_f32_e32 v107, 0x3df6dbef, v20
	v_add_f32_e32 v9, v10, v9
	v_mov_b32_e32 v10, v127
	v_add_f32_e32 v11, v12, v11
	v_fma_f32 v12, v20, s12, -v112
	v_add_f32_e32 v13, v108, v13
	v_fmac_f32_e32 v109, 0x3df6dbef, v91
	v_mov_b32_e32 v20, v107
	v_mul_f32_e32 v108, 0xbeb58ec6, v23
	v_fmac_f32_e32 v10, 0xbf7e222b, v55
	v_mul_f32_e32 v128, 0xbe750f2a, v85
	v_add_f32_e32 v11, v12, v11
	v_fma_f32 v12, v23, s5, -v113
	v_add_f32_e32 v13, v109, v13
	v_fmac_f32_e32 v20, 0x3f7e222b, v37
	v_mov_b32_e32 v23, v108
	v_mul_f32_e32 v109, 0xbf3f9e67, v19
	v_add_f32_e32 v10, v10, v9
	v_mov_b32_e32 v9, v128
	v_mul_f32_e32 v129, 0x3eedf032, v87
	v_add_f32_e32 v11, v12, v11
	v_fma_f32 v12, v19, s7, -v114
	v_add_f32_e32 v20, v20, v25
	v_fmac_f32_e32 v23, 0x3f6f5d39, v39
	v_mov_b32_e32 v19, v109
	v_fmac_f32_e32 v9, 0xbf788fa5, v59
	v_mov_b32_e32 v130, v129
	v_add_f32_e32 v11, v12, v11
	v_fma_f32 v12, v58, s6, -v115
	v_add_f32_e32 v20, v23, v20
	v_fmac_f32_e32 v19, 0x3f29c268, v43
	v_mul_f32_e32 v58, 0xbf788fa5, v58
	v_add_f32_e32 v9, v0, v9
	v_fmac_f32_e32 v130, 0x3f62ad3f, v86
	v_add_f32_e32 v19, v19, v20
	v_mov_b32_e32 v20, v58
	v_add_f32_e32 v9, v130, v9
	v_mul_f32_e32 v130, 0xbf29c268, v89
	v_fmac_f32_e32 v20, 0x3e750f2a, v55
	v_mul_f32_e32 v85, 0xbeedf032, v85
	v_mov_b32_e32 v131, v130
	v_add_f32_e32 v20, v20, v19
	v_mov_b32_e32 v19, v85
	v_mul_f32_e32 v87, 0xbf52af12, v87
	v_fmac_f32_e32 v131, 0xbf3f9e67, v88
	v_fmac_f32_e32 v19, 0x3f62ad3f, v59
	v_mov_b32_e32 v23, v87
	v_add_f32_e32 v9, v131, v9
	v_mul_f32_e32 v131, 0x3f52af12, v92
	v_add_f32_e32 v19, v0, v19
	v_fmac_f32_e32 v23, 0x3f116cb1, v86
	v_mul_f32_e32 v89, 0xbf7e222b, v89
	v_mov_b32_e32 v132, v131
	v_add_f32_e32 v19, v23, v19
	v_mov_b32_e32 v23, v89
	v_fmac_f32_e32 v132, 0x3f116cb1, v91
	v_fmac_f32_e32 v23, 0x3df6dbef, v88
	v_mul_f32_e32 v92, 0xbf6f5d39, v92
	v_add_f32_e32 v9, v132, v9
	v_mul_f32_e32 v132, 0xbf6f5d39, v98
	v_add_f32_e32 v19, v23, v19
	v_mov_b32_e32 v23, v92
	v_mov_b32_e32 v133, v132
	v_fmac_f32_e32 v23, 0xbeb58ec6, v91
	v_mul_f32_e32 v98, 0xbf29c268, v98
	v_fmac_f32_e32 v133, 0xbeb58ec6, v94
	v_add_f32_e32 v19, v23, v19
	v_mov_b32_e32 v23, v98
	v_add_f32_e32 v9, v133, v9
	v_mul_f32_e32 v133, 0x3f7e222b, v101
	v_fmac_f32_e32 v23, 0xbf3f9e67, v94
	v_mul_f32_e32 v101, 0xbe750f2a, v101
	v_add_f32_e32 v19, v23, v19
	v_mov_b32_e32 v23, v101
	v_fmac_f32_e32 v23, 0xbf788fa5, v100
	v_add_f32_e32 v19, v23, v19
	v_add_f32_e32 v23, v24, v1
	;; [unrolled: 1-line block ×3, first 2 shown]
	v_fmac_f32_e32 v122, 0xbe750f2a, v50
	v_add_f32_e32 v21, v21, v23
	v_add_f32_e32 v23, v1, v122
	v_fmac_f32_e32 v123, 0x3eedf032, v2
	v_add_f32_e32 v23, v123, v23
	v_fmac_f32_e32 v124, 0xbf29c268, v37
	v_add_f32_e32 v23, v124, v23
	v_fmac_f32_e32 v125, 0x3f52af12, v39
	v_add_f32_e32 v21, v22, v21
	v_add_f32_e32 v23, v125, v23
	v_fmac_f32_e32 v126, 0xbf6f5d39, v43
	v_add_f32_e32 v21, v41, v21
	v_add_f32_e32 v23, v126, v23
	v_fmac_f32_e32 v127, 0x3f7e222b, v55
	v_add_f32_e32 v21, v57, v21
	v_add_f32_e32 v24, v127, v23
	v_fma_f32 v23, v59, s5, -v128
	v_add_f32_e32 v21, v56, v21
	v_add_f32_e32 v23, v0, v23
	v_fma_f32 v25, v86, s7, -v129
	;; [unrolled: 3-line block ×6, first 2 shown]
	v_fmac_f32_e32 v44, 0xbf52af12, v50
	v_add_f32_e32 v22, v34, v21
	v_add_f32_e32 v21, v0, v51
	;; [unrolled: 1-line block ×4, first 2 shown]
	v_fmac_f32_e32 v45, 0xbf6f5d39, v2
	v_add_f32_e32 v21, v35, v21
	v_add_f32_e32 v25, v45, v25
	v_fmac_f32_e32 v46, 0xbe750f2a, v37
	v_add_f32_e32 v21, v33, v21
	v_add_f32_e32 v25, v46, v25
	;; [unrolled: 3-line block ×4, first 2 shown]
	v_fmac_f32_e32 v90, 0x3eedf032, v55
	v_fmac_f32_e32 v116, 0xbf3f9e67, v59
	v_add_f32_e32 v21, v47, v21
	v_add_f32_e32 v26, v90, v25
	v_fma_f32 v25, v59, s12, -v93
	v_fmac_f32_e32 v27, 0xbf52af12, v2
	v_fma_f32 v2, v59, s7, -v85
	v_add_f32_e32 v12, v12, v11
	v_add_f32_e32 v11, v0, v116
	;; [unrolled: 1-line block ×4, first 2 shown]
	v_fmac_f32_e32 v106, 0xbeedf032, v50
	v_add_f32_e32 v0, v0, v2
	v_fma_f32 v2, v86, s12, -v87
	v_fmac_f32_e32 v117, 0x3df6dbef, v86
	v_add_f32_e32 v21, v42, v21
	v_fma_f32 v28, v86, s6, -v99
	v_add_f32_e32 v1, v1, v106
	v_add_f32_e32 v0, v2, v0
	v_fma_f32 v2, v88, s4, -v89
	v_add_f32_e32 v11, v117, v11
	v_fmac_f32_e32 v118, 0x3f116cb1, v88
	v_add_f32_e32 v21, v38, v21
	v_add_f32_e32 v25, v28, v25
	v_fma_f32 v28, v88, s5, -v102
	v_add_f32_e32 v1, v27, v1
	v_fmac_f32_e32 v107, 0xbf7e222b, v37
	v_add_f32_e32 v0, v2, v0
	v_fma_f32 v2, v91, s6, -v92
	v_add_f32_e32 v11, v118, v11
	v_fmac_f32_e32 v119, 0xbf788fa5, v91
	v_add_f32_e32 v21, v36, v21
	v_add_f32_e32 v25, v28, v25
	v_fma_f32 v28, v91, s13, -v103
	v_add_f32_e32 v1, v107, v1
	v_fmac_f32_e32 v108, 0xbf6f5d39, v39
	v_add_f32_e32 v0, v2, v0
	v_fma_f32 v2, v94, s13, -v98
	v_mov_b32_e32 v134, v133
	v_add_f32_e32 v11, v119, v11
	v_fmac_f32_e32 v120, 0x3f62ad3f, v94
	v_fmac_f32_e32 v110, 0xbf788fa5, v94
	v_add_f32_e32 v21, v48, v21
	v_add_f32_e32 v25, v28, v25
	v_fma_f32 v28, v94, s4, -v104
	v_add_f32_e32 v1, v108, v1
	v_fmac_f32_e32 v109, 0xbf29c268, v43
	v_add_f32_e32 v0, v2, v0
	v_fma_f32 v2, v100, s5, -v101
	v_fmac_f32_e32 v134, 0x3df6dbef, v100
	v_add_f32_e32 v11, v120, v11
	v_fmac_f32_e32 v121, 0xbeb58ec6, v100
	v_add_f32_e32 v13, v110, v13
	;; [unrolled: 2-line block ×3, first 2 shown]
	v_add_f32_e32 v25, v28, v25
	v_fma_f32 v28, v100, s7, -v105
	v_add_f32_e32 v1, v109, v1
	v_fmac_f32_e32 v58, 0xbe750f2a, v55
	v_add_f32_e32 v0, v2, v0
	v_lshl_add_u32 v2, v95, 3, v97
	v_add_f32_e32 v9, v134, v9
	v_add_f32_e32 v11, v121, v11
	;; [unrolled: 1-line block ×5, first 2 shown]
	ds_write_b64 v96, v[21:22]
	ds_write2_b64 v2, v[19:20], v[17:18] offset0:12 offset1:24
	ds_write2_b64 v2, v[15:16], v[13:14] offset0:36 offset1:48
	;; [unrolled: 1-line block ×6, first 2 shown]
.LBB0_9:
	s_or_b64 exec, exec, s[0:1]
	s_waitcnt lgkmcnt(0)
	s_barrier
	ds_read2_b64 v[0:3], v96 offset1:13
	v_mad_u64_u32 v[8:9], s[0:1], s10, v72, 0
	s_mov_b32 s0, 0x1a41a41a
	s_mov_b32 s1, 0x3f7a41a4
	s_waitcnt lgkmcnt(0)
	v_mul_f32_e32 v5, v84, v1
	v_fmac_f32_e32 v5, v83, v0
	v_cvt_f64_f32_e32 v[5:6], v5
	v_mul_f32_e32 v0, v84, v0
	v_fma_f32 v0, v83, v1, -v0
	v_mov_b32_e32 v4, v9
	v_mul_f64 v[5:6], v[5:6], s[0:1]
	v_cvt_f64_f32_e32 v[0:1], v0
	v_mul_f64 v[0:1], v[0:1], s[0:1]
	v_mad_u64_u32 v[9:10], s[4:5], s11, v72, v[4:5]
	v_mad_u64_u32 v[10:11], s[4:5], s8, v95, 0
	v_cvt_f32_f64_e32 v12, v[5:6]
	v_cvt_f32_f64_e32 v13, v[0:1]
	v_mov_b32_e32 v4, v11
	v_mad_u64_u32 v[14:15], s[4:5], s9, v95, v[4:5]
	ds_read2_b64 v[4:7], v96 offset0:52 offset1:65
	v_lshlrev_b64 v[0:1], 3, v[8:9]
	v_mov_b32_e32 v11, v14
	v_mov_b32_e32 v14, s3
	v_add_co_u32_e32 v15, vcc, s2, v0
	s_waitcnt lgkmcnt(0)
	v_mul_f32_e32 v8, v82, v5
	v_fmac_f32_e32 v8, v81, v4
	v_mul_f32_e32 v4, v82, v4
	v_fma_f32 v4, v81, v5, -v4
	v_cvt_f64_f32_e32 v[8:9], v8
	v_cvt_f64_f32_e32 v[4:5], v4
	v_addc_co_u32_e32 v16, vcc, v14, v1, vcc
	v_mul_f64 v[0:1], v[8:9], s[0:1]
	v_mul_f64 v[4:5], v[4:5], s[0:1]
	v_lshlrev_b64 v[8:9], 3, v[10:11]
	s_mul_i32 s2, s9, 0x1a0
	v_add_co_u32_e32 v14, vcc, v15, v8
	v_addc_co_u32_e32 v15, vcc, v16, v9, vcc
	ds_read2_b64 v[8:11], v96 offset0:104 offset1:117
	v_cvt_f32_f64_e32 v0, v[0:1]
	v_cvt_f32_f64_e32 v1, v[4:5]
	s_mul_hi_u32 s3, s8, 0x1a0
	s_add_i32 s2, s3, s2
	s_waitcnt lgkmcnt(0)
	v_mul_f32_e32 v4, v78, v9
	v_fmac_f32_e32 v4, v77, v8
	v_mul_f32_e32 v8, v78, v8
	v_fma_f32 v8, v77, v9, -v8
	v_cvt_f64_f32_e32 v[4:5], v4
	v_cvt_f64_f32_e32 v[8:9], v8
	s_mul_i32 s3, s8, 0x1a0
	global_store_dwordx2 v[14:15], v[12:13], off
	v_mov_b32_e32 v13, s2
	v_add_co_u32_e32 v12, vcc, s3, v14
	v_addc_co_u32_e32 v13, vcc, v15, v13, vcc
	global_store_dwordx2 v[12:13], v[0:1], off
	v_mul_f64 v[0:1], v[4:5], s[0:1]
	v_mul_f64 v[4:5], v[8:9], s[0:1]
	v_mul_f32_e32 v8, v80, v3
	v_fmac_f32_e32 v8, v79, v2
	v_mul_f32_e32 v2, v80, v2
	v_fma_f32 v2, v79, v3, -v2
	v_cvt_f64_f32_e32 v[2:3], v2
	v_cvt_f64_f32_e32 v[8:9], v8
	v_cvt_f32_f64_e32 v0, v[0:1]
	v_cvt_f32_f64_e32 v1, v[4:5]
	v_mul_f64 v[2:3], v[2:3], s[0:1]
	v_mul_f64 v[4:5], v[8:9], s[0:1]
	v_mov_b32_e32 v9, s2
	v_add_co_u32_e32 v8, vcc, s3, v12
	v_addc_co_u32_e32 v9, vcc, v13, v9, vcc
	global_store_dwordx2 v[8:9], v[0:1], off
	v_cvt_f32_f64_e32 v1, v[2:3]
	v_mul_f32_e32 v2, v76, v7
	v_fmac_f32_e32 v2, v75, v6
	v_cvt_f64_f32_e32 v[2:3], v2
	v_cvt_f32_f64_e32 v0, v[4:5]
	v_mul_f32_e32 v4, v76, v6
	s_mul_hi_u32 s5, s8, 0xfffffd28
	v_mul_f64 v[2:3], v[2:3], s[0:1]
	v_fma_f32 v4, v75, v7, -v4
	s_mul_i32 s4, s9, 0xfffffd28
	s_sub_i32 s5, s5, s8
	v_cvt_f64_f32_e32 v[4:5], v4
	s_add_i32 s4, s5, s4
	s_mul_i32 s5, s8, 0xfffffd28
	v_mov_b32_e32 v12, s4
	v_add_co_u32_e32 v6, vcc, s5, v8
	v_addc_co_u32_e32 v7, vcc, v9, v12, vcc
	global_store_dwordx2 v[6:7], v[0:1], off
	v_mul_f64 v[0:1], v[4:5], s[0:1]
	v_cvt_f32_f64_e32 v4, v[2:3]
	v_mul_f32_e32 v2, v74, v11
	v_fmac_f32_e32 v2, v73, v10
	v_cvt_f64_f32_e32 v[2:3], v2
	v_mul_f32_e32 v5, v74, v10
	v_fma_f32 v5, v73, v11, -v5
	v_cvt_f64_f32_e32 v[8:9], v5
	v_cvt_f32_f64_e32 v5, v[0:1]
	v_mul_f64 v[10:11], v[2:3], s[0:1]
	ds_read2_b64 v[0:3], v96 offset0:26 offset1:39
	v_mov_b32_e32 v13, s2
	v_mul_f64 v[8:9], v[8:9], s[0:1]
	v_add_co_u32_e32 v12, vcc, s3, v6
	v_addc_co_u32_e32 v13, vcc, v7, v13, vcc
	global_store_dwordx2 v[12:13], v[4:5], off
	s_waitcnt lgkmcnt(0)
	v_mul_f32_e32 v4, v71, v1
	v_fmac_f32_e32 v4, v70, v0
	v_cvt_f64_f32_e32 v[4:5], v4
	v_cvt_f32_f64_e32 v10, v[10:11]
	v_cvt_f32_f64_e32 v11, v[8:9]
	v_mul_f32_e32 v0, v71, v0
	v_mul_f64 v[8:9], v[4:5], s[0:1]
	v_fma_f32 v0, v70, v1, -v0
	v_cvt_f64_f32_e32 v[0:1], v0
	ds_read2_b64 v[4:7], v96 offset0:78 offset1:91
	v_mov_b32_e32 v14, s2
	v_add_co_u32_e32 v12, vcc, s3, v12
	v_mul_f64 v[0:1], v[0:1], s[0:1]
	v_addc_co_u32_e32 v13, vcc, v13, v14, vcc
	v_cvt_f32_f64_e32 v14, v[8:9]
	s_waitcnt lgkmcnt(0)
	v_mul_f32_e32 v8, v69, v5
	v_fmac_f32_e32 v8, v68, v4
	v_mul_f32_e32 v4, v69, v4
	v_fma_f32 v4, v68, v5, -v4
	v_cvt_f64_f32_e32 v[8:9], v8
	v_cvt_f64_f32_e32 v[4:5], v4
	v_cvt_f32_f64_e32 v15, v[0:1]
	global_store_dwordx2 v[12:13], v[10:11], off
	v_mul_f64 v[0:1], v[8:9], s[0:1]
	v_mul_f64 v[4:5], v[4:5], s[0:1]
	v_mov_b32_e32 v10, s4
	v_add_co_u32_e32 v12, vcc, s5, v12
	v_addc_co_u32_e32 v13, vcc, v13, v10, vcc
	ds_read2_b64 v[8:11], v96 offset0:130 offset1:143
	v_cvt_f32_f64_e32 v0, v[0:1]
	v_cvt_f32_f64_e32 v1, v[4:5]
	global_store_dwordx2 v[12:13], v[14:15], off
	v_mov_b32_e32 v14, s2
	s_waitcnt lgkmcnt(0)
	v_mul_f32_e32 v4, v67, v9
	v_fmac_f32_e32 v4, v66, v8
	v_mul_f32_e32 v8, v67, v8
	v_fma_f32 v8, v66, v9, -v8
	v_cvt_f64_f32_e32 v[4:5], v4
	v_cvt_f64_f32_e32 v[8:9], v8
	v_add_co_u32_e32 v12, vcc, s3, v12
	v_addc_co_u32_e32 v13, vcc, v13, v14, vcc
	global_store_dwordx2 v[12:13], v[0:1], off
	v_mul_f64 v[0:1], v[4:5], s[0:1]
	v_mul_f64 v[4:5], v[8:9], s[0:1]
	v_mul_f32_e32 v8, v65, v3
	v_fmac_f32_e32 v8, v64, v2
	v_mul_f32_e32 v2, v65, v2
	v_fma_f32 v2, v64, v3, -v2
	v_cvt_f64_f32_e32 v[8:9], v8
	v_cvt_f64_f32_e32 v[2:3], v2
	v_cvt_f32_f64_e32 v0, v[0:1]
	v_cvt_f32_f64_e32 v1, v[4:5]
	v_mul_f64 v[4:5], v[8:9], s[0:1]
	v_mul_f64 v[2:3], v[2:3], s[0:1]
	v_mov_b32_e32 v9, s2
	v_add_co_u32_e32 v8, vcc, s3, v12
	v_addc_co_u32_e32 v9, vcc, v13, v9, vcc
	global_store_dwordx2 v[8:9], v[0:1], off
	v_cvt_f32_f64_e32 v0, v[4:5]
	v_cvt_f32_f64_e32 v1, v[2:3]
	v_mul_f32_e32 v2, v63, v7
	v_mul_f32_e32 v4, v63, v6
	v_fmac_f32_e32 v2, v62, v6
	v_fma_f32 v4, v62, v7, -v4
	v_cvt_f64_f32_e32 v[2:3], v2
	v_cvt_f64_f32_e32 v[4:5], v4
	v_mov_b32_e32 v12, s4
	v_add_co_u32_e32 v6, vcc, s5, v8
	v_addc_co_u32_e32 v7, vcc, v9, v12, vcc
	global_store_dwordx2 v[6:7], v[0:1], off
	v_mul_f64 v[0:1], v[2:3], s[0:1]
	v_mul_f64 v[2:3], v[4:5], s[0:1]
	v_mul_f32_e32 v4, v61, v11
	v_mul_f32_e32 v8, v61, v10
	v_fmac_f32_e32 v4, v60, v10
	v_fma_f32 v8, v60, v11, -v8
	v_cvt_f64_f32_e32 v[4:5], v4
	v_cvt_f64_f32_e32 v[8:9], v8
	v_cvt_f32_f64_e32 v0, v[0:1]
	v_cvt_f32_f64_e32 v1, v[2:3]
	v_mul_f64 v[2:3], v[4:5], s[0:1]
	v_mul_f64 v[4:5], v[8:9], s[0:1]
	v_mov_b32_e32 v8, s2
	v_add_co_u32_e32 v6, vcc, s3, v6
	v_addc_co_u32_e32 v7, vcc, v7, v8, vcc
	global_store_dwordx2 v[6:7], v[0:1], off
	v_cvt_f32_f64_e32 v0, v[2:3]
	v_cvt_f32_f64_e32 v1, v[4:5]
	v_mov_b32_e32 v3, s2
	v_add_co_u32_e32 v2, vcc, s3, v6
	v_addc_co_u32_e32 v3, vcc, v7, v3, vcc
	global_store_dwordx2 v[2:3], v[0:1], off
.LBB0_10:
	s_endpgm
	.section	.rodata,"a",@progbits
	.p2align	6, 0x0
	.amdhsa_kernel bluestein_single_back_len156_dim1_sp_op_CI_CI
		.amdhsa_group_segment_fixed_size 11232
		.amdhsa_private_segment_fixed_size 0
		.amdhsa_kernarg_size 104
		.amdhsa_user_sgpr_count 6
		.amdhsa_user_sgpr_private_segment_buffer 1
		.amdhsa_user_sgpr_dispatch_ptr 0
		.amdhsa_user_sgpr_queue_ptr 0
		.amdhsa_user_sgpr_kernarg_segment_ptr 1
		.amdhsa_user_sgpr_dispatch_id 0
		.amdhsa_user_sgpr_flat_scratch_init 0
		.amdhsa_user_sgpr_private_segment_size 0
		.amdhsa_uses_dynamic_stack 0
		.amdhsa_system_sgpr_private_segment_wavefront_offset 0
		.amdhsa_system_sgpr_workgroup_id_x 1
		.amdhsa_system_sgpr_workgroup_id_y 0
		.amdhsa_system_sgpr_workgroup_id_z 0
		.amdhsa_system_sgpr_workgroup_info 0
		.amdhsa_system_vgpr_workitem_id 0
		.amdhsa_next_free_vgpr 212
		.amdhsa_next_free_sgpr 20
		.amdhsa_reserve_vcc 1
		.amdhsa_reserve_flat_scratch 0
		.amdhsa_float_round_mode_32 0
		.amdhsa_float_round_mode_16_64 0
		.amdhsa_float_denorm_mode_32 3
		.amdhsa_float_denorm_mode_16_64 3
		.amdhsa_dx10_clamp 1
		.amdhsa_ieee_mode 1
		.amdhsa_fp16_overflow 0
		.amdhsa_exception_fp_ieee_invalid_op 0
		.amdhsa_exception_fp_denorm_src 0
		.amdhsa_exception_fp_ieee_div_zero 0
		.amdhsa_exception_fp_ieee_overflow 0
		.amdhsa_exception_fp_ieee_underflow 0
		.amdhsa_exception_fp_ieee_inexact 0
		.amdhsa_exception_int_div_zero 0
	.end_amdhsa_kernel
	.text
.Lfunc_end0:
	.size	bluestein_single_back_len156_dim1_sp_op_CI_CI, .Lfunc_end0-bluestein_single_back_len156_dim1_sp_op_CI_CI
                                        ; -- End function
	.section	.AMDGPU.csdata,"",@progbits
; Kernel info:
; codeLenInByte = 11496
; NumSgprs: 24
; NumVgprs: 212
; ScratchSize: 0
; MemoryBound: 0
; FloatMode: 240
; IeeeMode: 1
; LDSByteSize: 11232 bytes/workgroup (compile time only)
; SGPRBlocks: 2
; VGPRBlocks: 52
; NumSGPRsForWavesPerEU: 24
; NumVGPRsForWavesPerEU: 212
; Occupancy: 1
; WaveLimiterHint : 1
; COMPUTE_PGM_RSRC2:SCRATCH_EN: 0
; COMPUTE_PGM_RSRC2:USER_SGPR: 6
; COMPUTE_PGM_RSRC2:TRAP_HANDLER: 0
; COMPUTE_PGM_RSRC2:TGID_X_EN: 1
; COMPUTE_PGM_RSRC2:TGID_Y_EN: 0
; COMPUTE_PGM_RSRC2:TGID_Z_EN: 0
; COMPUTE_PGM_RSRC2:TIDIG_COMP_CNT: 0
	.type	__hip_cuid_7c2c513bd9e9d9fa,@object ; @__hip_cuid_7c2c513bd9e9d9fa
	.section	.bss,"aw",@nobits
	.globl	__hip_cuid_7c2c513bd9e9d9fa
__hip_cuid_7c2c513bd9e9d9fa:
	.byte	0                               ; 0x0
	.size	__hip_cuid_7c2c513bd9e9d9fa, 1

	.ident	"AMD clang version 19.0.0git (https://github.com/RadeonOpenCompute/llvm-project roc-6.4.0 25133 c7fe45cf4b819c5991fe208aaa96edf142730f1d)"
	.section	".note.GNU-stack","",@progbits
	.addrsig
	.addrsig_sym __hip_cuid_7c2c513bd9e9d9fa
	.amdgpu_metadata
---
amdhsa.kernels:
  - .args:
      - .actual_access:  read_only
        .address_space:  global
        .offset:         0
        .size:           8
        .value_kind:     global_buffer
      - .actual_access:  read_only
        .address_space:  global
        .offset:         8
        .size:           8
        .value_kind:     global_buffer
      - .actual_access:  read_only
        .address_space:  global
        .offset:         16
        .size:           8
        .value_kind:     global_buffer
      - .actual_access:  read_only
        .address_space:  global
        .offset:         24
        .size:           8
        .value_kind:     global_buffer
      - .actual_access:  read_only
        .address_space:  global
        .offset:         32
        .size:           8
        .value_kind:     global_buffer
      - .offset:         40
        .size:           8
        .value_kind:     by_value
      - .address_space:  global
        .offset:         48
        .size:           8
        .value_kind:     global_buffer
      - .address_space:  global
        .offset:         56
        .size:           8
        .value_kind:     global_buffer
      - .address_space:  global
        .offset:         64
        .size:           8
        .value_kind:     global_buffer
      - .address_space:  global
        .offset:         72
        .size:           8
        .value_kind:     global_buffer
      - .offset:         80
        .size:           4
        .value_kind:     by_value
      - .address_space:  global
        .offset:         88
        .size:           8
        .value_kind:     global_buffer
      - .address_space:  global
        .offset:         96
        .size:           8
        .value_kind:     global_buffer
    .group_segment_fixed_size: 11232
    .kernarg_segment_align: 8
    .kernarg_segment_size: 104
    .language:       OpenCL C
    .language_version:
      - 2
      - 0
    .max_flat_workgroup_size: 117
    .name:           bluestein_single_back_len156_dim1_sp_op_CI_CI
    .private_segment_fixed_size: 0
    .sgpr_count:     24
    .sgpr_spill_count: 0
    .symbol:         bluestein_single_back_len156_dim1_sp_op_CI_CI.kd
    .uniform_work_group_size: 1
    .uses_dynamic_stack: false
    .vgpr_count:     212
    .vgpr_spill_count: 0
    .wavefront_size: 64
amdhsa.target:   amdgcn-amd-amdhsa--gfx906
amdhsa.version:
  - 1
  - 2
...

	.end_amdgpu_metadata
